;; amdgpu-corpus repo=ROCm/rocFFT kind=compiled arch=gfx906 opt=O3
	.text
	.amdgcn_target "amdgcn-amd-amdhsa--gfx906"
	.amdhsa_code_object_version 6
	.protected	bluestein_single_back_len1000_dim1_dp_op_CI_CI ; -- Begin function bluestein_single_back_len1000_dim1_dp_op_CI_CI
	.globl	bluestein_single_back_len1000_dim1_dp_op_CI_CI
	.p2align	8
	.type	bluestein_single_back_len1000_dim1_dp_op_CI_CI,@function
bluestein_single_back_len1000_dim1_dp_op_CI_CI: ; @bluestein_single_back_len1000_dim1_dp_op_CI_CI
; %bb.0:
	s_load_dwordx4 s[12:15], s[4:5], 0x28
	v_mul_u32_u24_e32 v1, 0x290, v0
	v_add_u32_sdwa v112, s6, v1 dst_sel:DWORD dst_unused:UNUSED_PAD src0_sel:DWORD src1_sel:WORD_1
	v_mov_b32_e32 v113, 0
	s_waitcnt lgkmcnt(0)
	v_cmp_gt_u64_e32 vcc, s[12:13], v[112:113]
	s_and_saveexec_b64 s[0:1], vcc
	s_cbranch_execz .LBB0_2
; %bb.1:
	s_load_dwordx4 s[0:3], s[4:5], 0x18
	s_load_dwordx4 s[8:11], s[4:5], 0x0
	s_movk_i32 s6, 0x1000
	s_mov_b32 s12, 0x372fe950
	s_mov_b32 s13, 0x3fd3c6ef
	s_waitcnt lgkmcnt(0)
	s_load_dwordx4 s[16:19], s[0:1], 0x0
	s_movk_i32 s0, 0x64
	v_mul_lo_u16_sdwa v1, v1, s0 dst_sel:DWORD dst_unused:UNUSED_PAD src0_sel:WORD_1 src1_sel:DWORD
	v_sub_u16_e32 v116, v0, v1
	v_lshlrev_b32_e32 v115, 4, v116
	s_waitcnt lgkmcnt(0)
	v_mad_u64_u32 v[0:1], s[0:1], s18, v112, 0
	v_mad_u64_u32 v[2:3], s[0:1], s16, v116, 0
	s_mov_b32 s21, 0xbfd3c6ef
	s_mov_b32 s20, s12
	v_mad_u64_u32 v[4:5], s[0:1], s19, v112, v[1:2]
	s_mov_b32 s18, 0x9b97f4a8
	s_mov_b32 s19, 0x3fe9e377
	v_mad_u64_u32 v[5:6], s[0:1], s17, v116, v[3:4]
	v_mov_b32_e32 v1, v4
	v_lshlrev_b64 v[0:1], 4, v[0:1]
	v_mov_b32_e32 v6, s15
	v_mov_b32_e32 v3, v5
	v_add_co_u32_e32 v4, vcc, s14, v0
	v_addc_co_u32_e32 v5, vcc, v6, v1, vcc
	v_lshlrev_b64 v[0:1], 4, v[2:3]
	v_mov_b32_e32 v2, s9
	v_add_co_u32_e32 v0, vcc, v4, v0
	v_addc_co_u32_e32 v1, vcc, v5, v1, vcc
	v_add_co_u32_e32 v117, vcc, s8, v115
	s_mul_i32 s0, s17, 0x640
	s_mul_hi_u32 s1, s16, 0x640
	v_addc_co_u32_e32 v118, vcc, 0, v2, vcc
	s_add_i32 s0, s1, s0
	s_mul_i32 s1, s16, 0x640
	global_load_dwordx4 v[40:43], v[0:1], off
	v_mov_b32_e32 v2, s0
	v_add_co_u32_e32 v4, vcc, s1, v0
	v_addc_co_u32_e32 v5, vcc, v1, v2, vcc
	global_load_dwordx4 v[36:39], v115, s[8:9]
	global_load_dwordx4 v[24:27], v115, s[8:9] offset:1600
	v_mov_b32_e32 v0, s0
	v_add_co_u32_e32 v6, vcc, s1, v4
	v_addc_co_u32_e32 v7, vcc, v5, v0, vcc
	global_load_dwordx4 v[44:47], v[4:5], off
	global_load_dwordx4 v[48:51], v[6:7], off
	global_load_dwordx4 v[0:3], v115, s[8:9] offset:3200
	v_mov_b32_e32 v5, s0
	v_add_co_u32_e32 v4, vcc, s1, v6
	v_addc_co_u32_e32 v5, vcc, v7, v5, vcc
	v_add_co_u32_e32 v12, vcc, s6, v117
	v_addc_co_u32_e32 v13, vcc, 0, v118, vcc
	global_load_dwordx4 v[52:55], v[4:5], off
	v_mov_b32_e32 v6, s0
	v_add_co_u32_e32 v4, vcc, s1, v4
	v_addc_co_u32_e32 v5, vcc, v5, v6, vcc
	v_add_co_u32_e32 v14, vcc, s1, v4
	v_addc_co_u32_e32 v15, vcc, v5, v6, vcc
	global_load_dwordx4 v[56:59], v[4:5], off
	global_load_dwordx4 v[32:35], v[12:13], off offset:704
	global_load_dwordx4 v[8:11], v[12:13], off offset:2304
	global_load_dwordx4 v[60:63], v[14:15], off
	s_nop 0
	global_load_dwordx4 v[4:7], v[12:13], off offset:3904
	v_mov_b32_e32 v13, s0
	v_add_co_u32_e32 v12, vcc, s1, v14
	v_addc_co_u32_e32 v13, vcc, v15, v13, vcc
	s_movk_i32 s6, 0x2000
	v_add_co_u32_e32 v16, vcc, s6, v117
	v_addc_co_u32_e32 v17, vcc, 0, v118, vcc
	v_mov_b32_e32 v14, s0
	v_add_co_u32_e32 v18, vcc, s1, v12
	v_addc_co_u32_e32 v19, vcc, v13, v14, vcc
	global_load_dwordx4 v[64:67], v[12:13], off
	global_load_dwordx4 v[68:71], v[18:19], off
	global_load_dwordx4 v[28:31], v[16:17], off offset:1408
	s_nop 0
	global_load_dwordx4 v[12:15], v[16:17], off offset:3008
	v_mov_b32_e32 v17, s0
	v_add_co_u32_e32 v16, vcc, s1, v18
	v_addc_co_u32_e32 v17, vcc, v19, v17, vcc
	s_movk_i32 s6, 0x3000
	v_add_co_u32_e32 v113, vcc, s6, v117
	v_addc_co_u32_e32 v114, vcc, 0, v118, vcc
	global_load_dwordx4 v[72:75], v[16:17], off
	v_mov_b32_e32 v18, s0
	v_add_co_u32_e32 v80, vcc, s1, v16
	v_addc_co_u32_e32 v81, vcc, v17, v18, vcc
	global_load_dwordx4 v[16:19], v[113:114], off offset:512
	global_load_dwordx4 v[76:79], v[80:81], off
	global_load_dwordx4 v[20:23], v[113:114], off offset:2112
	s_load_dwordx4 s[0:3], s[2:3], 0x0
	s_mov_b32 s6, 0x134454ff
	s_mov_b32 s7, 0x3fee6f0e
	;; [unrolled: 1-line block ×10, first 2 shown]
	s_movk_i32 s24, 0xcd
	s_load_dwordx2 s[4:5], s[4:5], 0x38
	s_waitcnt vmcnt(18)
	v_mul_f64 v[80:81], v[42:43], v[38:39]
	v_mul_f64 v[82:83], v[40:41], v[38:39]
	s_waitcnt vmcnt(16)
	v_mul_f64 v[84:85], v[46:47], v[26:27]
	v_mul_f64 v[86:87], v[44:45], v[26:27]
	v_fma_f64 v[40:41], v[40:41], v[36:37], v[80:81]
	v_fma_f64 v[42:43], v[42:43], v[36:37], -v[82:83]
	v_fma_f64 v[44:45], v[44:45], v[24:25], v[84:85]
	v_fma_f64 v[46:47], v[46:47], v[24:25], -v[86:87]
	ds_write_b128 v115, v[40:43]
	ds_write_b128 v115, v[44:47] offset:1600
	s_waitcnt vmcnt(14)
	v_mul_f64 v[40:41], v[50:51], v[2:3]
	v_mul_f64 v[42:43], v[48:49], v[2:3]
	s_waitcnt vmcnt(11)
	v_mul_f64 v[44:45], v[54:55], v[34:35]
	s_waitcnt vmcnt(10)
	v_mul_f64 v[80:81], v[58:59], v[10:11]
	v_mul_f64 v[82:83], v[56:57], v[10:11]
	;; [unrolled: 1-line block ×3, first 2 shown]
	s_waitcnt vmcnt(8)
	v_mul_f64 v[84:85], v[62:63], v[6:7]
	v_mul_f64 v[86:87], v[60:61], v[6:7]
	v_fma_f64 v[40:41], v[48:49], v[0:1], v[40:41]
	v_fma_f64 v[42:43], v[50:51], v[0:1], -v[42:43]
	v_fma_f64 v[44:45], v[52:53], v[32:33], v[44:45]
	v_fma_f64 v[48:49], v[56:57], v[8:9], v[80:81]
	v_fma_f64 v[50:51], v[58:59], v[8:9], -v[82:83]
	v_fma_f64 v[46:47], v[54:55], v[32:33], -v[46:47]
	v_fma_f64 v[52:53], v[60:61], v[4:5], v[84:85]
	v_fma_f64 v[54:55], v[62:63], v[4:5], -v[86:87]
	s_waitcnt vmcnt(5)
	v_mul_f64 v[56:57], v[66:67], v[30:31]
	v_mul_f64 v[58:59], v[64:65], v[30:31]
	s_waitcnt vmcnt(4)
	v_mul_f64 v[60:61], v[70:71], v[14:15]
	v_mul_f64 v[62:63], v[68:69], v[14:15]
	v_fma_f64 v[56:57], v[64:65], v[28:29], v[56:57]
	v_fma_f64 v[58:59], v[66:67], v[28:29], -v[58:59]
	v_fma_f64 v[60:61], v[68:69], v[12:13], v[60:61]
	v_fma_f64 v[62:63], v[70:71], v[12:13], -v[62:63]
	s_waitcnt vmcnt(2)
	v_mul_f64 v[80:81], v[74:75], v[18:19]
	v_mul_f64 v[82:83], v[72:73], v[18:19]
	s_waitcnt vmcnt(0)
	v_mul_f64 v[84:85], v[78:79], v[22:23]
	v_mul_f64 v[86:87], v[76:77], v[22:23]
	v_fma_f64 v[64:65], v[72:73], v[16:17], v[80:81]
	v_fma_f64 v[66:67], v[74:75], v[16:17], -v[82:83]
	v_fma_f64 v[68:69], v[76:77], v[20:21], v[84:85]
	v_fma_f64 v[70:71], v[78:79], v[20:21], -v[86:87]
	ds_write_b128 v115, v[40:43] offset:3200
	ds_write_b128 v115, v[44:47] offset:4800
	;; [unrolled: 1-line block ×8, first 2 shown]
	s_waitcnt lgkmcnt(0)
	s_barrier
	ds_read_b128 v[40:43], v115 offset:9600
	ds_read_b128 v[44:47], v115 offset:6400
	ds_read_b128 v[48:51], v115 offset:8000
	ds_read_b128 v[52:55], v115 offset:11200
	ds_read_b128 v[56:59], v115 offset:3200
	ds_read_b128 v[60:63], v115
	ds_read_b128 v[64:67], v115 offset:12800
	ds_read_b128 v[68:71], v115 offset:1600
	;; [unrolled: 1-line block ×3, first 2 shown]
	s_waitcnt lgkmcnt(7)
	v_add_f64 v[76:77], v[44:45], v[40:41]
	s_waitcnt lgkmcnt(2)
	v_add_f64 v[84:85], v[58:59], -v[66:67]
	v_add_f64 v[90:91], v[56:57], -v[44:45]
	;; [unrolled: 1-line block ×3, first 2 shown]
	v_add_f64 v[94:95], v[56:57], v[64:65]
	v_add_f64 v[80:81], v[60:61], v[56:57]
	v_add_f64 v[88:89], v[46:47], -v[42:43]
	v_add_f64 v[98:99], v[44:45], -v[56:57]
	v_fma_f64 v[82:83], v[76:77], -0.5, v[60:61]
	v_add_f64 v[100:101], v[40:41], -v[64:65]
	v_add_f64 v[56:57], v[56:57], -v[64:65]
	v_add_f64 v[90:91], v[90:91], v[92:93]
	v_fma_f64 v[60:61], v[94:95], -0.5, v[60:61]
	v_add_f64 v[92:93], v[62:63], v[58:59]
	v_add_f64 v[94:95], v[46:47], v[42:43]
	v_add_f64 v[80:81], v[80:81], v[44:45]
	v_fma_f64 v[86:87], v[84:85], s[6:7], v[82:83]
	v_fma_f64 v[82:83], v[84:85], s[16:17], v[82:83]
	ds_read_b128 v[76:79], v115 offset:14400
	s_waitcnt lgkmcnt(0)
	v_fma_f64 v[96:97], v[88:89], s[16:17], v[60:61]
	v_fma_f64 v[60:61], v[88:89], s[6:7], v[60:61]
	s_barrier
	v_add_f64 v[80:81], v[80:81], v[40:41]
	v_fma_f64 v[86:87], v[88:89], s[8:9], v[86:87]
	v_fma_f64 v[82:83], v[88:89], s[14:15], v[82:83]
	v_add_f64 v[88:89], v[92:93], v[46:47]
	v_fma_f64 v[92:93], v[94:95], -0.5, v[62:63]
	v_fma_f64 v[94:95], v[84:85], s[8:9], v[96:97]
	v_add_f64 v[96:97], v[98:99], v[100:101]
	v_fma_f64 v[60:61], v[84:85], s[14:15], v[60:61]
	v_add_f64 v[40:41], v[44:45], -v[40:41]
	v_fma_f64 v[86:87], v[90:91], s[12:13], v[86:87]
	v_fma_f64 v[82:83], v[90:91], s[12:13], v[82:83]
	v_add_f64 v[84:85], v[88:89], v[42:43]
	v_add_f64 v[88:89], v[58:59], v[66:67]
	v_fma_f64 v[90:91], v[56:57], s[16:17], v[92:93]
	v_fma_f64 v[94:95], v[96:97], s[12:13], v[94:95]
	v_add_f64 v[44:45], v[48:49], v[52:53]
	v_add_f64 v[98:99], v[58:59], -v[46:47]
	v_fma_f64 v[96:97], v[96:97], s[12:13], v[60:61]
	v_add_f64 v[60:61], v[66:67], -v[42:43]
	v_add_f64 v[64:65], v[80:81], v[64:65]
	v_fma_f64 v[62:63], v[88:89], -0.5, v[62:63]
	v_add_f64 v[88:89], v[68:69], v[72:73]
	v_add_f64 v[80:81], v[84:85], v[66:67]
	v_fma_f64 v[84:85], v[40:41], s[14:15], v[90:91]
	v_fma_f64 v[44:45], v[44:45], -0.5, v[68:69]
	v_add_f64 v[90:91], v[74:75], -v[78:79]
	v_add_f64 v[60:61], v[98:99], v[60:61]
	v_fma_f64 v[92:93], v[56:57], s[6:7], v[92:93]
	v_fma_f64 v[98:99], v[40:41], s[6:7], v[62:63]
	v_add_f64 v[46:47], v[46:47], -v[58:59]
	v_add_f64 v[42:43], v[42:43], -v[66:67]
	v_fma_f64 v[58:59], v[40:41], s[16:17], v[62:63]
	v_add_f64 v[62:63], v[88:89], v[48:49]
	v_fma_f64 v[66:67], v[90:91], s[6:7], v[44:45]
	v_add_f64 v[88:89], v[50:51], -v[54:55]
	v_add_f64 v[100:101], v[72:73], -v[48:49]
	;; [unrolled: 1-line block ×3, first 2 shown]
	v_fma_f64 v[40:41], v[40:41], s[8:9], v[92:93]
	v_fma_f64 v[92:93], v[56:57], s[14:15], v[98:99]
	v_add_f64 v[98:99], v[72:73], v[76:77]
	v_add_f64 v[42:43], v[46:47], v[42:43]
	v_fma_f64 v[46:47], v[56:57], s[8:9], v[58:59]
	v_add_f64 v[56:57], v[62:63], v[52:53]
	v_fma_f64 v[58:59], v[88:89], s[8:9], v[66:67]
	v_add_f64 v[62:63], v[100:101], v[102:103]
	v_fma_f64 v[66:67], v[60:61], s[12:13], v[84:85]
	v_fma_f64 v[84:85], v[60:61], s[12:13], v[40:41]
	v_fma_f64 v[40:41], v[98:99], -0.5, v[68:69]
	v_fma_f64 v[92:93], v[42:43], s[12:13], v[92:93]
	v_fma_f64 v[98:99], v[42:43], s[12:13], v[46:47]
	v_add_f64 v[60:61], v[56:57], v[76:77]
	v_add_f64 v[42:43], v[50:51], v[54:55]
	v_add_f64 v[56:57], v[74:75], v[78:79]
	v_fma_f64 v[46:47], v[62:63], s[12:13], v[58:59]
	v_fma_f64 v[44:45], v[90:91], s[16:17], v[44:45]
	;; [unrolled: 1-line block ×3, first 2 shown]
	v_add_f64 v[68:69], v[48:49], -v[72:73]
	v_add_f64 v[100:101], v[52:53], -v[76:77]
	v_add_f64 v[102:103], v[70:71], v[74:75]
	v_fma_f64 v[42:43], v[42:43], -0.5, v[70:71]
	v_add_f64 v[72:73], v[72:73], -v[76:77]
	v_fma_f64 v[56:57], v[56:57], -0.5, v[70:71]
	v_add_f64 v[48:49], v[48:49], -v[52:53]
	v_fma_f64 v[44:45], v[88:89], s[14:15], v[44:45]
	v_fma_f64 v[52:53], v[90:91], s[8:9], v[58:59]
	v_add_f64 v[58:59], v[68:69], v[100:101]
	v_fma_f64 v[40:41], v[88:89], s[6:7], v[40:41]
	v_add_f64 v[68:69], v[102:103], v[50:51]
	v_fma_f64 v[70:71], v[72:73], s[16:17], v[42:43]
	v_add_f64 v[76:77], v[74:75], -v[50:51]
	v_fma_f64 v[88:89], v[48:49], s[6:7], v[56:57]
	v_add_f64 v[50:51], v[50:51], -v[74:75]
	v_add_f64 v[74:75], v[54:55], -v[78:79]
	;; [unrolled: 1-line block ×3, first 2 shown]
	v_fma_f64 v[42:43], v[72:73], s[6:7], v[42:43]
	v_fma_f64 v[56:57], v[48:49], s[16:17], v[56:57]
	;; [unrolled: 1-line block ×3, first 2 shown]
	v_add_f64 v[54:55], v[68:69], v[54:55]
	v_fma_f64 v[68:69], v[48:49], s[14:15], v[70:71]
	v_fma_f64 v[70:71], v[72:73], s[14:15], v[88:89]
	v_add_f64 v[50:51], v[50:51], v[74:75]
	v_add_f64 v[74:75], v[76:77], v[100:101]
	v_fma_f64 v[42:43], v[48:49], s[8:9], v[42:43]
	v_fma_f64 v[48:49], v[72:73], s[8:9], v[56:57]
	;; [unrolled: 1-line block ×5, first 2 shown]
	v_add_f64 v[62:63], v[54:55], v[78:79]
	v_fma_f64 v[54:55], v[50:51], s[12:13], v[70:71]
	v_fma_f64 v[58:59], v[74:75], s[12:13], v[68:69]
	;; [unrolled: 1-line block ×4, first 2 shown]
	v_mul_f64 v[50:51], v[46:47], s[18:19]
	v_mul_f64 v[46:47], v[46:47], s[14:15]
	;; [unrolled: 1-line block ×5, first 2 shown]
	v_add_f64 v[40:41], v[64:65], v[60:61]
	v_mul_f64 v[78:79], v[42:43], s[22:23]
	v_mul_f64 v[76:77], v[48:49], s[20:21]
	v_fma_f64 v[74:75], v[58:59], s[8:9], v[50:51]
	v_mul_f64 v[50:51], v[44:45], s[16:17]
	v_fma_f64 v[90:91], v[58:59], s[18:19], v[46:47]
	v_fma_f64 v[70:71], v[48:49], s[6:7], v[70:71]
	;; [unrolled: 1-line block ×6, first 2 shown]
	v_add_f64 v[42:43], v[80:81], v[62:63]
	v_fma_f64 v[100:101], v[54:55], s[12:13], v[50:51]
	v_add_f64 v[44:45], v[86:87], v[74:75]
	v_add_f64 v[46:47], v[66:67], v[90:91]
	;; [unrolled: 1-line block ×8, first 2 shown]
	v_add_f64 v[60:61], v[64:65], -v[60:61]
	v_add_f64 v[62:63], v[80:81], -v[62:63]
	;; [unrolled: 1-line block ×4, first 2 shown]
	v_mul_lo_u16_e32 v80, 10, v116
	v_add_f64 v[68:69], v[94:95], -v[68:69]
	v_add_f64 v[72:73], v[96:97], -v[70:71]
	;; [unrolled: 1-line block ×3, first 2 shown]
	v_lshlrev_b32_e32 v119, 4, v80
	v_add_f64 v[76:77], v[82:83], -v[88:89]
	v_add_f64 v[74:75], v[98:99], -v[102:103]
	;; [unrolled: 1-line block ×3, first 2 shown]
	ds_write_b128 v119, v[40:43]
	ds_write_b128 v119, v[44:47] offset:16
	ds_write_b128 v119, v[48:51] offset:32
	;; [unrolled: 1-line block ×9, first 2 shown]
	v_mul_lo_u16_sdwa v40, v116, s24 dst_sel:DWORD dst_unused:UNUSED_PAD src0_sel:BYTE_0 src1_sel:DWORD
	v_lshrrev_b16_e32 v70, 11, v40
	v_mul_lo_u16_e32 v40, 10, v70
	v_sub_u16_e32 v40, v116, v40
	v_mov_b32_e32 v69, s11
	v_and_b32_e32 v71, 0xff, v40
	s_movk_i32 s24, 0x90
	v_mov_b32_e32 v68, s10
	v_mad_u64_u32 v[80:81], s[10:11], v71, s24, v[68:69]
	s_waitcnt lgkmcnt(0)
	s_barrier
	global_load_dwordx4 v[52:55], v[80:81], off
	global_load_dwordx4 v[48:51], v[80:81], off offset:16
	global_load_dwordx4 v[44:47], v[80:81], off offset:32
	;; [unrolled: 1-line block ×8, first 2 shown]
	ds_read_b128 v[80:83], v115 offset:1600
	ds_read_b128 v[84:87], v115 offset:3200
	ds_read_b128 v[88:91], v115
	ds_read_b128 v[92:95], v115 offset:4800
	ds_read_b128 v[96:99], v115 offset:6400
	;; [unrolled: 1-line block ×3, first 2 shown]
	v_mul_u32_u24_e32 v70, 0x64, v70
	s_waitcnt vmcnt(8) lgkmcnt(5)
	v_mul_f64 v[104:105], v[82:83], v[54:55]
	s_waitcnt vmcnt(7) lgkmcnt(4)
	v_mul_f64 v[108:109], v[86:87], v[50:51]
	v_mul_f64 v[106:107], v[80:81], v[54:55]
	;; [unrolled: 1-line block ×3, first 2 shown]
	s_waitcnt vmcnt(6) lgkmcnt(2)
	v_mul_f64 v[120:121], v[94:95], v[46:47]
	s_waitcnt vmcnt(4) lgkmcnt(0)
	v_mul_f64 v[124:125], v[102:103], v[62:63]
	v_mul_f64 v[122:123], v[96:97], v[42:43]
	v_mul_f64 v[126:127], v[100:101], v[62:63]
	v_fma_f64 v[104:105], v[80:81], v[52:53], -v[104:105]
	v_mul_f64 v[80:81], v[92:93], v[46:47]
	v_fma_f64 v[108:109], v[84:85], v[48:49], -v[108:109]
	v_mul_f64 v[84:85], v[98:99], v[42:43]
	v_fma_f64 v[106:107], v[82:83], v[52:53], v[106:107]
	v_fma_f64 v[110:111], v[86:87], v[48:49], v[110:111]
	v_fma_f64 v[120:121], v[92:93], v[44:45], -v[120:121]
	v_fma_f64 v[100:101], v[100:101], v[60:61], -v[124:125]
	v_fma_f64 v[122:123], v[98:99], v[40:41], v[122:123]
	v_fma_f64 v[128:129], v[94:95], v[44:45], v[80:81]
	ds_read_b128 v[80:83], v115 offset:9600
	v_fma_f64 v[130:131], v[96:97], v[40:41], -v[84:85]
	ds_read_b128 v[84:87], v115 offset:12800
	ds_read_b128 v[92:95], v115 offset:11200
	ds_read_b128 v[96:99], v115 offset:14400
	v_fma_f64 v[102:103], v[102:103], v[60:61], v[126:127]
	s_waitcnt vmcnt(3) lgkmcnt(3)
	v_mul_f64 v[132:133], v[82:83], v[58:59]
	s_waitcnt vmcnt(2) lgkmcnt(2)
	v_mul_f64 v[136:137], v[86:87], v[74:75]
	v_mul_f64 v[134:135], v[80:81], v[58:59]
	s_waitcnt vmcnt(1) lgkmcnt(1)
	v_mul_f64 v[138:139], v[94:95], v[78:79]
	v_mul_f64 v[140:141], v[92:93], v[78:79]
	;; [unrolled: 1-line block ×3, first 2 shown]
	v_add_f64 v[168:169], v[110:111], -v[122:123]
	v_add_f64 v[154:155], v[128:129], -v[102:103]
	v_fma_f64 v[124:125], v[80:81], v[56:57], -v[132:133]
	v_fma_f64 v[132:133], v[84:85], v[72:73], -v[136:137]
	v_fma_f64 v[126:127], v[82:83], v[56:57], v[134:135]
	v_fma_f64 v[92:93], v[92:93], v[76:77], -v[138:139]
	v_fma_f64 v[94:95], v[94:95], v[76:77], v[140:141]
	v_fma_f64 v[134:135], v[86:87], v[72:73], v[142:143]
	v_add_f64 v[80:81], v[88:89], v[108:109]
	s_waitcnt vmcnt(0) lgkmcnt(0)
	v_mul_f64 v[82:83], v[98:99], v[66:67]
	v_mul_f64 v[84:85], v[96:97], v[66:67]
	v_add_f64 v[86:87], v[130:131], v[124:125]
	v_add_f64 v[136:137], v[108:109], v[132:133]
	;; [unrolled: 1-line block ×6, first 2 shown]
	v_fma_f64 v[96:97], v[96:97], v[64:65], -v[82:83]
	v_fma_f64 v[98:99], v[98:99], v[64:65], v[84:85]
	v_fma_f64 v[144:145], v[86:87], -0.5, v[88:89]
	v_fma_f64 v[136:137], v[136:137], -0.5, v[88:89]
	v_add_f64 v[82:83], v[138:139], v[122:123]
	v_add_f64 v[84:85], v[140:141], v[100:101]
	;; [unrolled: 1-line block ×6, first 2 shown]
	v_add_f64 v[150:151], v[120:121], -v[96:97]
	v_add_f64 v[152:153], v[128:129], -v[98:99]
	v_add_f64 v[82:83], v[82:83], v[126:127]
	v_add_f64 v[172:173], v[128:129], v[98:99]
	v_fma_f64 v[148:149], v[88:89], -0.5, v[106:107]
	v_fma_f64 v[140:141], v[140:141], -0.5, v[104:105]
	v_add_f64 v[174:175], v[120:121], v[96:97]
	v_add_f64 v[138:139], v[122:123], v[126:127]
	;; [unrolled: 1-line block ×7, first 2 shown]
	v_add_f64 v[80:81], v[120:121], -v[100:101]
	v_add_f64 v[82:83], v[96:97], -v[92:93]
	;; [unrolled: 1-line block ×3, first 2 shown]
	v_fma_f64 v[158:159], v[150:151], s[16:17], v[148:149]
	v_add_f64 v[160:161], v[100:101], -v[92:93]
	v_fma_f64 v[162:163], v[152:153], s[6:7], v[140:141]
	v_add_f64 v[164:165], v[102:103], -v[94:95]
	v_fma_f64 v[106:107], v[172:173], -0.5, v[106:107]
	v_fma_f64 v[104:105], v[174:175], -0.5, v[104:105]
	v_add_f64 v[84:85], v[84:85], v[96:97]
	v_add_f64 v[86:87], v[86:87], v[98:99]
	v_fma_f64 v[138:139], v[138:139], -0.5, v[90:91]
	v_fma_f64 v[142:143], v[142:143], -0.5, v[90:91]
	v_add_f64 v[166:167], v[80:81], v[82:83]
	v_add_f64 v[154:155], v[154:155], v[156:157]
	v_fma_f64 v[90:91], v[160:161], s[14:15], v[158:159]
	v_fma_f64 v[156:157], v[164:165], s[8:9], v[162:163]
	v_add_f64 v[158:159], v[108:109], -v[130:131]
	v_add_f64 v[162:163], v[132:133], -v[124:125]
	v_add_f64 v[170:171], v[134:135], -v[126:127]
	v_add_f64 v[100:101], v[100:101], -v[120:121]
	v_add_f64 v[92:93], v[92:93], -v[96:97]
	v_add_f64 v[96:97], v[102:103], -v[128:129]
	v_add_f64 v[94:95], v[94:95], -v[98:99]
	v_fma_f64 v[98:99], v[160:161], s[6:7], v[106:107]
	v_fma_f64 v[102:103], v[164:165], s[16:17], v[104:105]
	v_add_f64 v[80:81], v[146:147], v[84:85]
	v_fma_f64 v[90:91], v[154:155], s[12:13], v[90:91]
	v_fma_f64 v[156:157], v[166:167], s[12:13], v[156:157]
	v_add_f64 v[84:85], v[146:147], -v[84:85]
	v_add_f64 v[146:147], v[158:159], v[162:163]
	v_add_f64 v[158:159], v[168:169], v[170:171]
	v_add_f64 v[168:169], v[110:111], -v[134:135]
	v_add_f64 v[170:171], v[108:109], -v[132:133]
	v_add_f64 v[100:101], v[100:101], v[92:93]
	v_add_f64 v[176:177], v[96:97], v[94:95]
	v_fma_f64 v[92:93], v[150:151], s[14:15], v[98:99]
	v_fma_f64 v[94:95], v[152:153], s[8:9], v[102:103]
	v_add_f64 v[82:83], v[88:89], v[86:87]
	v_add_f64 v[86:87], v[88:89], -v[86:87]
	v_mul_f64 v[88:89], v[90:91], s[8:9]
	v_mul_f64 v[162:163], v[156:157], s[14:15]
	v_fma_f64 v[120:121], v[168:169], s[6:7], v[144:145]
	v_add_f64 v[128:129], v[122:123], -v[126:127]
	v_fma_f64 v[172:173], v[170:171], s[16:17], v[138:139]
	v_add_f64 v[174:175], v[130:131], -v[124:125]
	v_fma_f64 v[92:93], v[176:177], s[12:13], v[92:93]
	v_fma_f64 v[94:95], v[100:101], s[12:13], v[94:95]
	;; [unrolled: 1-line block ×4, first 2 shown]
	v_add_f64 v[102:103], v[130:131], -v[108:109]
	v_fma_f64 v[88:89], v[128:129], s[8:9], v[120:121]
	v_add_f64 v[108:109], v[124:125], -v[132:133]
	v_fma_f64 v[90:91], v[174:175], s[14:15], v[172:173]
	v_add_f64 v[110:111], v[122:123], -v[110:111]
	v_add_f64 v[120:121], v[126:127], -v[134:135]
	v_fma_f64 v[122:123], v[128:129], s[16:17], v[136:137]
	v_fma_f64 v[124:125], v[174:175], s[6:7], v[142:143]
	v_mul_f64 v[132:133], v[92:93], s[6:7]
	v_mul_f64 v[134:135], v[94:95], s[16:17]
	v_fma_f64 v[104:105], v[164:165], s[6:7], v[104:105]
	v_fma_f64 v[106:107], v[160:161], s[16:17], v[106:107]
	;; [unrolled: 1-line block ×4, first 2 shown]
	v_add_f64 v[102:103], v[102:103], v[108:109]
	v_add_f64 v[108:109], v[110:111], v[120:121]
	v_fma_f64 v[110:111], v[168:169], s[8:9], v[122:123]
	v_fma_f64 v[120:121], v[170:171], s[14:15], v[124:125]
	;; [unrolled: 1-line block ×8, first 2 shown]
	v_add_f64 v[88:89], v[126:127], v[96:97]
	v_add_f64 v[90:91], v[130:131], v[98:99]
	v_add_f64 v[92:93], v[126:127], -v[96:97]
	v_add_f64 v[94:95], v[130:131], -v[98:99]
	v_fma_f64 v[126:127], v[164:165], s[14:15], v[132:133]
	v_fma_f64 v[130:131], v[160:161], s[8:9], v[134:135]
	;; [unrolled: 1-line block ×12, first 2 shown]
	v_mul_f64 v[138:139], v[100:101], s[20:21]
	v_mul_f64 v[140:141], v[104:105], s[20:21]
	v_fma_f64 v[106:107], v[128:129], s[14:15], v[106:107]
	v_fma_f64 v[128:129], v[174:175], s[8:9], v[136:137]
	v_mul_f64 v[136:137], v[126:127], s[22:23]
	v_mul_f64 v[142:143], v[130:131], s[22:23]
	v_fma_f64 v[110:111], v[102:103], s[12:13], v[110:111]
	v_fma_f64 v[120:121], v[108:109], s[12:13], v[120:121]
	;; [unrolled: 1-line block ×10, first 2 shown]
	v_add_f64 v[96:97], v[110:111], v[122:123]
	v_add_f64 v[98:99], v[120:121], v[124:125]
	;; [unrolled: 1-line block ×4, first 2 shown]
	v_add_f64 v[100:101], v[110:111], -v[122:123]
	v_add_f64 v[102:103], v[120:121], -v[124:125]
	v_add_f64 v[121:122], v[140:141], v[130:131]
	v_add_f64 v[123:124], v[128:129], v[136:137]
	v_add_lshl_u32 v120, v70, v71, 4
	v_add_f64 v[108:109], v[132:133], -v[108:109]
	v_add_f64 v[110:111], v[134:135], -v[138:139]
	;; [unrolled: 1-line block ×4, first 2 shown]
	s_barrier
	ds_write_b128 v120, v[80:83]
	ds_write_b128 v120, v[88:91] offset:160
	ds_write_b128 v120, v[96:99] offset:320
	;; [unrolled: 1-line block ×9, first 2 shown]
	v_mad_u64_u32 v[121:122], s[10:11], v116, s24, v[68:69]
	s_waitcnt lgkmcnt(0)
	s_barrier
	global_load_dwordx4 v[84:87], v[121:122], off offset:1440
	global_load_dwordx4 v[80:83], v[121:122], off offset:1456
	;; [unrolled: 1-line block ×9, first 2 shown]
	ds_read_b128 v[121:124], v115 offset:1600
	ds_read_b128 v[125:128], v115 offset:3200
	ds_read_b128 v[129:132], v115
	ds_read_b128 v[133:136], v115 offset:4800
	ds_read_b128 v[137:140], v115 offset:6400
	;; [unrolled: 1-line block ×3, first 2 shown]
	s_movk_i32 s10, 0x3e80
	s_waitcnt vmcnt(8) lgkmcnt(5)
	v_mul_f64 v[145:146], v[123:124], v[86:87]
	v_mul_f64 v[147:148], v[121:122], v[86:87]
	s_waitcnt vmcnt(6) lgkmcnt(2)
	v_mul_f64 v[153:154], v[135:136], v[70:71]
	v_mul_f64 v[149:150], v[127:128], v[82:83]
	;; [unrolled: 1-line block ×4, first 2 shown]
	s_waitcnt vmcnt(5) lgkmcnt(1)
	v_mul_f64 v[157:158], v[139:140], v[90:91]
	v_mul_f64 v[159:160], v[137:138], v[90:91]
	v_fma_f64 v[145:146], v[121:122], v[84:85], -v[145:146]
	v_fma_f64 v[147:148], v[123:124], v[84:85], v[147:148]
	ds_read_b128 v[121:124], v115 offset:9600
	v_fma_f64 v[153:154], v[133:134], v[68:69], -v[153:154]
	s_waitcnt vmcnt(4) lgkmcnt(1)
	v_mul_f64 v[161:162], v[143:144], v[94:95]
	v_mul_f64 v[163:164], v[141:142], v[94:95]
	v_fma_f64 v[149:150], v[125:126], v[80:81], -v[149:150]
	s_waitcnt vmcnt(3) lgkmcnt(0)
	v_mul_f64 v[165:166], v[123:124], v[102:103]
	v_mul_f64 v[167:168], v[121:122], v[102:103]
	v_fma_f64 v[151:152], v[127:128], v[80:81], v[151:152]
	v_fma_f64 v[155:156], v[135:136], v[68:69], v[155:156]
	ds_read_b128 v[125:128], v115 offset:11200
	ds_read_b128 v[133:136], v115 offset:12800
	v_fma_f64 v[157:158], v[137:138], v[88:89], -v[157:158]
	v_fma_f64 v[141:142], v[141:142], v[92:93], -v[161:162]
	v_fma_f64 v[143:144], v[143:144], v[92:93], v[163:164]
	s_waitcnt vmcnt(2) lgkmcnt(1)
	v_mul_f64 v[169:170], v[127:128], v[106:107]
	v_mul_f64 v[171:172], v[125:126], v[106:107]
	s_waitcnt vmcnt(1) lgkmcnt(0)
	v_mul_f64 v[173:174], v[135:136], v[110:111]
	v_mul_f64 v[161:162], v[133:134], v[110:111]
	v_fma_f64 v[163:164], v[121:122], v[100:101], -v[165:166]
	v_fma_f64 v[165:166], v[123:124], v[100:101], v[167:168]
	v_add_f64 v[123:124], v[145:146], v[153:154]
	v_fma_f64 v[159:160], v[139:140], v[88:89], v[159:160]
	ds_read_b128 v[137:140], v115 offset:14400
	v_fma_f64 v[167:168], v[125:126], v[104:105], -v[169:170]
	v_fma_f64 v[127:128], v[127:128], v[104:105], v[171:172]
	v_fma_f64 v[133:134], v[133:134], v[108:109], -v[173:174]
	v_add_f64 v[121:122], v[129:130], v[149:150]
	v_fma_f64 v[135:136], v[135:136], v[108:109], v[161:162]
	s_waitcnt vmcnt(0) lgkmcnt(0)
	v_mul_f64 v[125:126], v[139:140], v[98:99]
	v_mul_f64 v[161:162], v[137:138], v[98:99]
	v_add_f64 v[169:170], v[157:158], v[163:164]
	v_add_f64 v[171:172], v[131:132], v[151:152]
	;; [unrolled: 1-line block ×6, first 2 shown]
	v_fma_f64 v[137:138], v[137:138], v[96:97], -v[125:126]
	v_fma_f64 v[139:140], v[139:140], v[96:97], v[161:162]
	v_fma_f64 v[161:162], v[169:170], -0.5, v[129:130]
	v_add_f64 v[125:126], v[171:172], v[159:160]
	v_add_f64 v[169:170], v[173:174], v[143:144]
	;; [unrolled: 1-line block ×4, first 2 shown]
	v_fma_f64 v[171:172], v[175:176], -0.5, v[129:130]
	v_add_f64 v[129:130], v[159:160], v[165:166]
	v_add_f64 v[173:174], v[151:152], v[135:136]
	v_add_f64 v[185:186], v[155:156], -v[139:140]
	v_add_f64 v[125:126], v[125:126], v[165:166]
	v_add_f64 v[169:170], v[169:170], v[127:128]
	;; [unrolled: 1-line block ×5, first 2 shown]
	v_fma_f64 v[181:182], v[129:130], -0.5, v[131:132]
	v_fma_f64 v[173:174], v[173:174], -0.5, v[131:132]
	v_add_f64 v[187:188], v[139:140], -v[127:128]
	v_add_f64 v[129:130], v[125:126], v[135:136]
	v_add_f64 v[131:132], v[169:170], v[139:140]
	v_add_f64 v[125:126], v[155:156], -v[143:144]
	v_fma_f64 v[169:170], v[123:124], -0.5, v[145:146]
	v_add_f64 v[175:176], v[143:144], v[127:128]
	v_add_f64 v[121:122], v[177:178], v[179:180]
	v_add_f64 v[193:194], v[153:154], -v[141:142]
	v_add_f64 v[195:196], v[137:138], -v[167:168]
	;; [unrolled: 1-line block ×4, first 2 shown]
	v_add_f64 v[187:188], v[125:126], v[187:188]
	v_fma_f64 v[197:198], v[185:186], s[6:7], v[169:170]
	v_add_f64 v[203:204], v[133:134], -v[163:164]
	v_add_f64 v[205:206], v[151:152], -v[159:160]
	;; [unrolled: 1-line block ×4, first 2 shown]
	v_add_f64 v[177:178], v[155:156], v[139:140]
	v_fma_f64 v[175:176], v[175:176], -0.5, v[147:148]
	v_add_f64 v[191:192], v[141:142], -v[167:168]
	v_add_f64 v[193:194], v[193:194], v[195:196]
	v_fma_f64 v[195:196], v[199:200], s[8:9], v[197:198]
	v_add_f64 v[197:198], v[201:202], v[203:204]
	v_add_f64 v[203:204], v[205:206], v[207:208]
	;; [unrolled: 1-line block ×3, first 2 shown]
	v_fma_f64 v[147:148], v[177:178], -0.5, v[147:148]
	v_add_f64 v[183:184], v[153:154], -v[137:138]
	v_add_f64 v[143:144], v[143:144], -v[155:156]
	;; [unrolled: 1-line block ×6, first 2 shown]
	v_fma_f64 v[139:140], v[205:206], -0.5, v[145:146]
	v_fma_f64 v[145:146], v[191:192], s[6:7], v[147:148]
	v_fma_f64 v[189:190], v[183:184], s[16:17], v[175:176]
	v_add_f64 v[123:124], v[129:130], v[131:132]
	v_add_f64 v[143:144], v[143:144], v[127:128]
	v_fma_f64 v[195:196], v[193:194], s[12:13], v[195:196]
	v_fma_f64 v[211:212], v[201:202], s[16:17], v[181:182]
	v_add_f64 v[155:156], v[157:158], -v[163:164]
	v_fma_f64 v[153:154], v[199:200], s[16:17], v[139:140]
	v_fma_f64 v[145:146], v[183:184], s[14:15], v[145:146]
	;; [unrolled: 1-line block ×3, first 2 shown]
	v_add_f64 v[127:128], v[129:130], -v[131:132]
	v_add_f64 v[141:142], v[141:142], v[137:138]
	v_add_f64 v[209:210], v[159:160], -v[165:166]
	v_mul_f64 v[205:206], v[195:196], s[14:15]
	v_fma_f64 v[167:168], v[155:156], s[14:15], v[211:212]
	v_fma_f64 v[129:130], v[185:186], s[8:9], v[153:154]
	;; [unrolled: 1-line block ×4, first 2 shown]
	v_add_f64 v[189:190], v[151:152], -v[135:136]
	v_add_f64 v[149:150], v[157:158], -v[149:150]
	v_add_f64 v[133:134], v[163:164], -v[133:134]
	v_add_f64 v[151:152], v[159:160], -v[151:152]
	v_add_f64 v[135:136], v[165:166], -v[135:136]
	v_fma_f64 v[157:158], v[141:142], s[12:13], v[129:130]
	v_mul_f64 v[159:160], v[137:138], s[6:7]
	v_fma_f64 v[163:164], v[155:156], s[6:7], v[173:174]
	v_fma_f64 v[139:140], v[199:200], s[6:7], v[139:140]
	;; [unrolled: 1-line block ×3, first 2 shown]
	v_mul_f64 v[177:178], v[179:180], s[8:9]
	v_fma_f64 v[179:180], v[179:180], s[18:19], v[205:206]
	v_fma_f64 v[145:146], v[203:204], s[12:13], v[167:168]
	v_add_f64 v[151:152], v[151:152], v[135:136]
	v_fma_f64 v[159:160], v[157:158], s[12:13], v[159:160]
	v_mul_f64 v[157:158], v[157:158], s[16:17]
	v_fma_f64 v[163:164], v[201:202], s[14:15], v[163:164]
	v_fma_f64 v[165:166], v[185:186], s[16:17], v[169:170]
	;; [unrolled: 1-line block ×5, first 2 shown]
	v_add_f64 v[131:132], v[145:146], v[179:180]
	v_add_f64 v[135:136], v[145:146], -v[179:180]
	v_fma_f64 v[145:146], v[137:138], s[12:13], v[157:158]
	v_fma_f64 v[157:158], v[151:152], s[12:13], v[163:164]
	;; [unrolled: 1-line block ×15, first 2 shown]
	v_add_f64 v[149:150], v[149:150], v[133:134]
	v_fma_f64 v[153:154], v[189:190], s[8:9], v[153:154]
	v_fma_f64 v[165:166], v[189:190], s[14:15], v[167:168]
	;; [unrolled: 1-line block ×3, first 2 shown]
	v_mul_f64 v[169:170], v[139:140], s[20:21]
	v_mul_f64 v[171:172], v[141:142], s[20:21]
	v_fma_f64 v[143:144], v[209:210], s[14:15], v[143:144]
	v_fma_f64 v[147:148], v[155:156], s[8:9], v[147:148]
	v_mul_f64 v[155:156], v[161:162], s[22:23]
	v_mul_f64 v[173:174], v[163:164], s[22:23]
	v_fma_f64 v[177:178], v[195:196], s[18:19], v[177:178]
	v_fma_f64 v[195:196], v[197:198], s[12:13], v[207:208]
	;; [unrolled: 1-line block ×11, first 2 shown]
	v_add_f64 v[129:130], v[195:196], v[177:178]
	v_add_f64 v[137:138], v[153:154], v[159:160]
	;; [unrolled: 1-line block ×3, first 2 shown]
	v_add_f64 v[143:144], v[157:158], -v[145:146]
	v_add_f64 v[145:146], v[149:150], v[165:166]
	v_add_f64 v[147:148], v[151:152], v[167:168]
	v_add_f64 v[141:142], v[153:154], -v[159:160]
	v_add_f64 v[153:154], v[169:170], v[163:164]
	v_add_f64 v[155:156], v[171:172], v[161:162]
	v_add_f64 v[133:134], v[195:196], -v[177:178]
	v_add_f64 v[149:150], v[149:150], -v[165:166]
	;; [unrolled: 1-line block ×5, first 2 shown]
	ds_write_b128 v115, v[121:124]
	ds_write_b128 v115, v[129:132] offset:1600
	ds_write_b128 v115, v[137:140] offset:3200
	;; [unrolled: 1-line block ×9, first 2 shown]
	s_waitcnt lgkmcnt(0)
	s_barrier
	global_load_dwordx4 v[121:124], v[113:114], off offset:3712
	v_add_co_u32_e32 v113, vcc, s10, v117
	v_addc_co_u32_e32 v114, vcc, 0, v118, vcc
	global_load_dwordx4 v[125:128], v[113:114], off offset:1600
	global_load_dwordx4 v[129:132], v[113:114], off offset:3200
	s_movk_i32 s10, 0x5000
	v_add_co_u32_e32 v113, vcc, s10, v117
	v_addc_co_u32_e32 v114, vcc, 0, v118, vcc
	global_load_dwordx4 v[133:136], v[113:114], off offset:320
	global_load_dwordx4 v[137:140], v[113:114], off offset:1920
	;; [unrolled: 1-line block ×3, first 2 shown]
	s_movk_i32 s10, 0x6000
	v_add_co_u32_e32 v113, vcc, s10, v117
	v_addc_co_u32_e32 v114, vcc, 0, v118, vcc
	s_movk_i32 s10, 0x7000
	global_load_dwordx4 v[145:148], v[113:114], off offset:1024
	global_load_dwordx4 v[149:152], v[113:114], off offset:2624
	v_add_co_u32_e32 v113, vcc, s10, v117
	v_addc_co_u32_e32 v114, vcc, 0, v118, vcc
	global_load_dwordx4 v[153:156], v[113:114], off offset:128
	global_load_dwordx4 v[157:160], v[113:114], off offset:1728
	ds_read_b128 v[161:164], v115
	ds_read_b128 v[165:168], v115 offset:1600
	ds_read_b128 v[169:172], v115 offset:3200
	;; [unrolled: 1-line block ×3, first 2 shown]
	s_waitcnt vmcnt(9) lgkmcnt(3)
	v_mul_f64 v[113:114], v[163:164], v[123:124]
	v_mul_f64 v[117:118], v[161:162], v[123:124]
	s_waitcnt vmcnt(8) lgkmcnt(2)
	v_mul_f64 v[123:124], v[167:168], v[127:128]
	v_mul_f64 v[127:128], v[165:166], v[127:128]
	v_fma_f64 v[161:162], v[161:162], v[121:122], -v[113:114]
	s_waitcnt vmcnt(7) lgkmcnt(1)
	v_mul_f64 v[113:114], v[171:172], v[131:132]
	v_fma_f64 v[163:164], v[163:164], v[121:122], v[117:118]
	v_mul_f64 v[117:118], v[169:170], v[131:132]
	v_fma_f64 v[121:122], v[165:166], v[125:126], -v[123:124]
	v_fma_f64 v[123:124], v[167:168], v[125:126], v[127:128]
	ds_read_b128 v[125:128], v115 offset:6400
	ds_read_b128 v[165:168], v115 offset:8000
	s_waitcnt vmcnt(6) lgkmcnt(2)
	v_mul_f64 v[131:132], v[175:176], v[135:136]
	v_mul_f64 v[135:136], v[173:174], v[135:136]
	v_fma_f64 v[169:170], v[169:170], v[129:130], -v[113:114]
	s_waitcnt vmcnt(5) lgkmcnt(1)
	v_mul_f64 v[177:178], v[127:128], v[139:140]
	v_mul_f64 v[113:114], v[125:126], v[139:140]
	s_waitcnt vmcnt(4) lgkmcnt(0)
	v_mul_f64 v[139:140], v[167:168], v[143:144]
	v_mul_f64 v[143:144], v[165:166], v[143:144]
	v_fma_f64 v[171:172], v[171:172], v[129:130], v[117:118]
	v_fma_f64 v[129:130], v[173:174], v[133:134], -v[131:132]
	v_fma_f64 v[131:132], v[175:176], v[133:134], v[135:136]
	ds_read_b128 v[133:136], v115 offset:9600
	v_fma_f64 v[125:126], v[125:126], v[137:138], -v[177:178]
	v_fma_f64 v[127:128], v[127:128], v[137:138], v[113:114]
	v_fma_f64 v[137:138], v[165:166], v[141:142], -v[139:140]
	v_fma_f64 v[139:140], v[167:168], v[141:142], v[143:144]
	ds_read_b128 v[141:144], v115 offset:11200
	ds_read_b128 v[165:168], v115 offset:12800
	;; [unrolled: 1-line block ×3, first 2 shown]
	s_waitcnt vmcnt(3) lgkmcnt(3)
	v_mul_f64 v[113:114], v[135:136], v[147:148]
	v_mul_f64 v[117:118], v[133:134], v[147:148]
	s_waitcnt vmcnt(2) lgkmcnt(2)
	v_mul_f64 v[147:148], v[143:144], v[151:152]
	v_mul_f64 v[151:152], v[141:142], v[151:152]
	;; [unrolled: 3-line block ×4, first 2 shown]
	v_fma_f64 v[133:134], v[133:134], v[145:146], -v[113:114]
	v_fma_f64 v[135:136], v[135:136], v[145:146], v[117:118]
	v_fma_f64 v[141:142], v[141:142], v[149:150], -v[147:148]
	v_fma_f64 v[143:144], v[143:144], v[149:150], v[151:152]
	;; [unrolled: 2-line block ×4, first 2 shown]
	ds_write_b128 v115, v[161:164]
	ds_write_b128 v115, v[121:124] offset:1600
	ds_write_b128 v115, v[169:172] offset:3200
	;; [unrolled: 1-line block ×9, first 2 shown]
	s_waitcnt lgkmcnt(0)
	s_barrier
	ds_read_b128 v[121:124], v115 offset:3200
	ds_read_b128 v[125:128], v115
	ds_read_b128 v[129:132], v115 offset:1600
	ds_read_b128 v[133:136], v115 offset:4800
	;; [unrolled: 1-line block ×7, first 2 shown]
	s_waitcnt lgkmcnt(7)
	v_add_f64 v[117:118], v[127:128], v[123:124]
	v_add_f64 v[113:114], v[125:126], v[121:122]
	s_waitcnt lgkmcnt(4)
	v_add_f64 v[161:162], v[121:122], -v[137:138]
	v_add_f64 v[163:164], v[137:138], -v[121:122]
	;; [unrolled: 1-line block ×4, first 2 shown]
	s_waitcnt lgkmcnt(0)
	v_add_f64 v[173:174], v[123:124], -v[155:156]
	v_add_f64 v[175:176], v[121:122], v[153:154]
	v_add_f64 v[117:118], v[117:118], v[139:140]
	;; [unrolled: 1-line block ×3, first 2 shown]
	v_add_f64 v[177:178], v[121:122], -v[153:154]
	v_add_f64 v[121:122], v[123:124], v[155:156]
	v_add_f64 v[123:124], v[129:130], v[133:134]
	v_add_f64 v[159:160], v[139:140], -v[143:144]
	v_add_f64 v[165:166], v[139:140], v[143:144]
	v_add_f64 v[179:180], v[131:132], v[135:136]
	;; [unrolled: 1-line block ×4, first 2 shown]
	v_add_f64 v[183:184], v[155:156], -v[143:144]
	v_add_f64 v[143:144], v[143:144], -v[155:156]
	v_add_f64 v[123:124], v[123:124], v[145:146]
	v_add_f64 v[185:186], v[147:148], v[151:152]
	;; [unrolled: 1-line block ×3, first 2 shown]
	v_add_f64 v[167:168], v[137:138], -v[141:142]
	v_add_f64 v[117:118], v[117:118], v[155:156]
	v_add_f64 v[155:156], v[145:146], v[149:150]
	ds_read_b128 v[137:140], v115 offset:14400
	v_add_f64 v[181:182], v[153:154], -v[141:142]
	v_add_f64 v[141:142], v[141:142], -v[153:154]
	v_add_f64 v[113:114], v[113:114], v[153:154]
	v_add_f64 v[153:154], v[179:180], v[147:148]
	s_waitcnt lgkmcnt(0)
	v_add_f64 v[193:194], v[135:136], -v[139:140]
	v_add_f64 v[195:196], v[133:134], -v[137:138]
	v_fma_f64 v[185:186], v[185:186], -0.5, v[131:132]
	v_add_f64 v[123:124], v[123:124], v[149:150]
	v_fma_f64 v[155:156], v[155:156], -0.5, v[129:130]
	v_add_f64 v[179:180], v[147:148], -v[151:152]
	v_add_f64 v[187:188], v[133:134], -v[145:146]
	v_add_f64 v[189:190], v[145:146], -v[133:134]
	v_add_f64 v[145:146], v[145:146], -v[149:150]
	v_add_f64 v[191:192], v[135:136], -v[147:148]
	v_add_f64 v[147:148], v[147:148], -v[135:136]
	v_add_f64 v[133:134], v[133:134], v[137:138]
	v_add_f64 v[135:136], v[135:136], v[139:140]
	;; [unrolled: 1-line block ×3, first 2 shown]
	v_add_f64 v[197:198], v[137:138], -v[149:150]
	v_add_f64 v[199:200], v[139:140], -v[151:152]
	v_fma_f64 v[201:202], v[195:196], s[6:7], v[185:186]
	v_add_f64 v[149:150], v[149:150], -v[137:138]
	v_add_f64 v[137:138], v[123:124], v[137:138]
	v_fma_f64 v[123:124], v[193:194], s[16:17], v[155:156]
	v_add_f64 v[151:152], v[151:152], -v[139:140]
	v_add_f64 v[139:140], v[153:154], v[139:140]
	v_fma_f64 v[153:154], v[157:158], -0.5, v[125:126]
	v_add_f64 v[157:158], v[191:192], v[199:200]
	v_fma_f64 v[191:192], v[145:146], s[8:9], v[201:202]
	v_fma_f64 v[135:136], v[135:136], -0.5, v[131:132]
	v_add_f64 v[187:188], v[187:188], v[197:198]
	v_fma_f64 v[131:132], v[179:180], s[14:15], v[123:124]
	v_fma_f64 v[165:166], v[165:166], -0.5, v[127:128]
	v_fma_f64 v[197:198], v[121:122], -0.5, v[127:128]
	;; [unrolled: 1-line block ×4, first 2 shown]
	v_fma_f64 v[127:128], v[157:158], s[12:13], v[191:192]
	v_add_f64 v[121:122], v[113:114], v[137:138]
	v_add_f64 v[125:126], v[113:114], -v[137:138]
	v_fma_f64 v[129:130], v[187:188], s[12:13], v[131:132]
	v_fma_f64 v[131:132], v[173:174], s[16:17], v[153:154]
	v_add_f64 v[161:162], v[161:162], v[181:182]
	v_fma_f64 v[137:138], v[177:178], s[6:7], v[165:166]
	v_add_f64 v[147:148], v[147:148], v[151:152]
	v_mul_f64 v[133:134], v[127:128], s[14:15]
	v_fma_f64 v[151:152], v[179:180], s[6:7], v[199:200]
	v_add_f64 v[169:170], v[169:170], v[183:184]
	v_mul_f64 v[181:182], v[129:130], s[8:9]
	v_fma_f64 v[131:132], v[159:160], s[14:15], v[131:132]
	v_fma_f64 v[113:114], v[145:146], s[16:17], v[135:136]
	v_add_f64 v[123:124], v[117:118], v[139:140]
	v_add_f64 v[143:144], v[171:172], v[143:144]
	v_fma_f64 v[133:134], v[129:130], s[18:19], v[133:134]
	v_fma_f64 v[129:130], v[167:168], s[8:9], v[137:138]
	;; [unrolled: 1-line block ×8, first 2 shown]
	v_add_f64 v[149:150], v[189:190], v[149:150]
	v_fma_f64 v[183:184], v[169:170], s[12:13], v[129:130]
	v_fma_f64 v[155:156], v[193:194], s[6:7], v[155:156]
	;; [unrolled: 1-line block ×4, first 2 shown]
	v_add_f64 v[127:128], v[117:118], -v[139:140]
	v_fma_f64 v[139:140], v[145:146], s[6:7], v[135:136]
	v_add_f64 v[129:130], v[181:182], v[133:134]
	v_add_f64 v[133:134], v[181:182], -v[133:134]
	v_fma_f64 v[181:182], v[195:196], s[16:17], v[185:186]
	v_fma_f64 v[189:190], v[177:178], s[8:9], v[131:132]
	v_add_f64 v[131:132], v[183:184], v[151:152]
	v_add_f64 v[135:136], v[183:184], -v[151:152]
	v_fma_f64 v[151:152], v[179:180], s[16:17], v[199:200]
	v_fma_f64 v[183:184], v[195:196], s[14:15], v[139:140]
	;; [unrolled: 1-line block ×10, first 2 shown]
	v_add_f64 v[141:142], v[163:164], v[141:142]
	v_fma_f64 v[137:138], v[149:150], s[12:13], v[137:138]
	v_fma_f64 v[145:146], v[157:158], s[12:13], v[145:146]
	v_mul_f64 v[163:164], v[113:114], s[16:17]
	v_mul_f64 v[113:114], v[113:114], s[12:13]
	v_fma_f64 v[175:176], v[173:174], s[8:9], v[175:176]
	v_fma_f64 v[157:158], v[177:178], s[14:15], v[181:182]
	v_fma_f64 v[149:150], v[149:150], s[12:13], v[151:152]
	v_mul_f64 v[151:152], v[147:148], s[16:17]
	v_mul_f64 v[147:148], v[147:148], s[20:21]
	v_fma_f64 v[153:154], v[159:160], s[8:9], v[153:154]
	;; [unrolled: 5-line block ×3, first 2 shown]
	v_fma_f64 v[113:114], v[137:138], s[6:7], v[113:114]
	v_fma_f64 v[163:164], v[141:142], s[12:13], v[171:172]
	v_fma_f64 v[171:172], v[143:144], s[12:13], v[189:190]
	v_fma_f64 v[167:168], v[141:142], s[12:13], v[175:176]
	v_fma_f64 v[157:158], v[143:144], s[12:13], v[157:158]
	v_fma_f64 v[151:152], v[149:150], s[20:21], v[151:152]
	v_fma_f64 v[173:174], v[149:150], s[6:7], v[147:148]
	v_fma_f64 v[161:162], v[161:162], s[12:13], v[153:154]
	v_fma_f64 v[159:160], v[169:170], s[12:13], v[159:160]
	v_fma_f64 v[165:166], v[155:156], s[22:23], v[165:166]
	v_fma_f64 v[169:170], v[155:156], s[8:9], v[145:146]
	v_add_f64 v[137:138], v[163:164], v[117:118]
	v_add_f64 v[139:140], v[171:172], v[113:114]
	;; [unrolled: 1-line block ×4, first 2 shown]
	v_add_f64 v[141:142], v[163:164], -v[117:118]
	v_add_f64 v[143:144], v[171:172], -v[113:114]
	v_add_f64 v[153:154], v[161:162], v[165:166]
	v_add_f64 v[155:156], v[159:160], v[169:170]
	v_add_f64 v[149:150], v[167:168], -v[151:152]
	v_add_f64 v[151:152], v[157:158], -v[173:174]
	;; [unrolled: 1-line block ×4, first 2 shown]
	s_barrier
	ds_write_b128 v119, v[121:124]
	ds_write_b128 v119, v[129:132] offset:16
	ds_write_b128 v119, v[137:140] offset:32
	;; [unrolled: 1-line block ×9, first 2 shown]
	s_waitcnt lgkmcnt(0)
	s_barrier
	ds_read_b128 v[121:124], v115 offset:1600
	ds_read_b128 v[125:128], v115
	ds_read_b128 v[129:132], v115 offset:3200
	ds_read_b128 v[133:136], v115 offset:4800
	ds_read_b128 v[137:140], v115 offset:6400
	ds_read_b128 v[141:144], v115 offset:8000
	s_waitcnt lgkmcnt(5)
	v_mul_f64 v[113:114], v[54:55], v[123:124]
	v_mul_f64 v[54:55], v[54:55], v[121:122]
	s_waitcnt lgkmcnt(3)
	v_mul_f64 v[117:118], v[50:51], v[131:132]
	v_mul_f64 v[50:51], v[50:51], v[129:130]
	;; [unrolled: 3-line block ×3, first 2 shown]
	v_fma_f64 v[113:114], v[52:53], v[121:122], v[113:114]
	v_mul_f64 v[121:122], v[46:47], v[135:136]
	v_mul_f64 v[46:47], v[46:47], v[133:134]
	v_fma_f64 v[117:118], v[48:49], v[129:130], v[117:118]
	v_fma_f64 v[129:130], v[48:49], v[131:132], -v[50:51]
	v_fma_f64 v[123:124], v[52:53], v[123:124], -v[54:55]
	s_waitcnt lgkmcnt(0)
	v_mul_f64 v[52:53], v[62:63], v[143:144]
	v_mul_f64 v[62:63], v[62:63], v[141:142]
	v_fma_f64 v[121:122], v[44:45], v[133:134], v[121:122]
	v_fma_f64 v[131:132], v[44:45], v[135:136], -v[46:47]
	v_fma_f64 v[133:134], v[40:41], v[137:138], v[145:146]
	v_fma_f64 v[135:136], v[40:41], v[139:140], -v[42:43]
	ds_read_b128 v[40:43], v115 offset:9600
	ds_read_b128 v[44:47], v115 offset:12800
	;; [unrolled: 1-line block ×3, first 2 shown]
	v_fma_f64 v[137:138], v[60:61], v[141:142], v[52:53]
	v_fma_f64 v[60:61], v[60:61], v[143:144], -v[62:63]
	ds_read_b128 v[52:55], v115 offset:14400
	s_waitcnt lgkmcnt(3)
	v_mul_f64 v[139:140], v[58:59], v[42:43]
	v_mul_f64 v[58:59], v[58:59], v[40:41]
	s_waitcnt lgkmcnt(2)
	v_mul_f64 v[141:142], v[74:75], v[46:47]
	s_waitcnt lgkmcnt(1)
	v_mul_f64 v[62:63], v[78:79], v[50:51]
	v_mul_f64 v[78:79], v[78:79], v[48:49]
	;; [unrolled: 1-line block ×3, first 2 shown]
	s_waitcnt lgkmcnt(0)
	v_mul_f64 v[143:144], v[66:67], v[54:55]
	v_add_f64 v[157:158], v[117:118], -v[133:134]
	v_fma_f64 v[139:140], v[56:57], v[40:41], v[139:140]
	v_fma_f64 v[56:57], v[56:57], v[42:43], -v[58:59]
	v_fma_f64 v[58:59], v[72:73], v[44:45], v[141:142]
	v_mul_f64 v[40:41], v[66:67], v[52:53]
	v_fma_f64 v[50:51], v[76:77], v[50:51], -v[78:79]
	v_add_f64 v[44:45], v[125:126], v[117:118]
	v_fma_f64 v[48:49], v[76:77], v[48:49], v[62:63]
	v_fma_f64 v[46:47], v[72:73], v[46:47], -v[74:75]
	v_add_f64 v[42:43], v[133:134], v[139:140]
	v_fma_f64 v[52:53], v[64:65], v[52:53], v[143:144]
	v_add_f64 v[62:63], v[117:118], v[58:59]
	v_fma_f64 v[54:55], v[64:65], v[54:55], -v[40:41]
	v_add_f64 v[40:41], v[135:136], v[56:57]
	v_add_f64 v[64:65], v[127:128], v[129:130]
	;; [unrolled: 1-line block ×4, first 2 shown]
	v_fma_f64 v[74:75], v[42:43], -0.5, v[125:126]
	v_add_f64 v[42:43], v[44:45], v[133:134]
	v_add_f64 v[44:45], v[60:61], v[50:51]
	v_fma_f64 v[62:63], v[62:63], -0.5, v[125:126]
	v_fma_f64 v[76:77], v[40:41], -0.5, v[127:128]
	v_add_f64 v[40:41], v[64:65], v[135:136]
	v_add_f64 v[64:65], v[66:67], v[137:138]
	;; [unrolled: 1-line block ×4, first 2 shown]
	v_add_f64 v[141:142], v[121:122], -v[52:53]
	v_fma_f64 v[125:126], v[44:45], -0.5, v[123:124]
	v_add_f64 v[42:43], v[42:43], v[139:140]
	v_add_f64 v[143:144], v[54:55], -v[50:51]
	v_add_f64 v[145:146], v[131:132], -v[54:55]
	v_add_f64 v[44:45], v[64:65], v[48:49]
	v_add_f64 v[64:65], v[66:67], v[50:51]
	v_add_f64 v[66:67], v[131:132], -v[60:61]
	v_fma_f64 v[78:79], v[78:79], -0.5, v[113:114]
	v_fma_f64 v[147:148], v[141:142], s[6:7], v[125:126]
	v_add_f64 v[149:150], v[137:138], -v[48:49]
	v_add_f64 v[72:73], v[129:130], v[46:47]
	v_add_f64 v[40:41], v[40:41], v[56:57]
	;; [unrolled: 1-line block ×4, first 2 shown]
	v_add_f64 v[42:43], v[121:122], -v[137:138]
	v_add_f64 v[153:154], v[52:53], -v[48:49]
	v_add_f64 v[66:67], v[66:67], v[143:144]
	v_fma_f64 v[143:144], v[145:146], s[16:17], v[78:79]
	v_add_f64 v[155:156], v[60:61], -v[50:51]
	v_fma_f64 v[147:148], v[149:150], s[8:9], v[147:148]
	v_fma_f64 v[72:73], v[72:73], -0.5, v[127:128]
	v_add_f64 v[127:128], v[40:41], v[46:47]
	v_add_f64 v[40:41], v[151:152], v[44:45]
	;; [unrolled: 1-line block ×3, first 2 shown]
	v_add_f64 v[159:160], v[58:59], -v[139:140]
	v_add_f64 v[161:162], v[129:130], -v[135:136]
	v_fma_f64 v[143:144], v[155:156], s[14:15], v[143:144]
	v_fma_f64 v[147:148], v[66:67], s[12:13], v[147:148]
	v_add_f64 v[163:164], v[46:47], -v[56:57]
	v_add_f64 v[44:45], v[151:152], -v[44:45]
	v_add_f64 v[151:152], v[131:132], v[54:55]
	v_add_f64 v[167:168], v[129:130], -v[46:47]
	v_add_f64 v[157:158], v[157:158], v[159:160]
	v_add_f64 v[64:65], v[64:65], v[54:55]
	v_fma_f64 v[143:144], v[153:154], s[12:13], v[143:144]
	v_mul_f64 v[165:166], v[147:148], s[14:15]
	v_add_f64 v[159:160], v[161:162], v[163:164]
	v_add_f64 v[161:162], v[121:122], v[52:53]
	v_fma_f64 v[123:124], v[151:152], -0.5, v[123:124]
	v_add_f64 v[169:170], v[135:136], -v[56:57]
	v_add_f64 v[60:61], v[60:61], -v[131:132]
	;; [unrolled: 1-line block ×4, first 2 shown]
	v_fma_f64 v[163:164], v[143:144], s[18:19], v[165:166]
	v_fma_f64 v[165:166], v[167:168], s[16:17], v[74:75]
	v_fma_f64 v[113:114], v[161:162], -0.5, v[113:114]
	v_fma_f64 v[54:55], v[149:150], s[16:17], v[123:124]
	v_fma_f64 v[123:124], v[149:150], s[6:7], v[123:124]
	v_fma_f64 v[125:126], v[141:142], s[16:17], v[125:126]
	v_add_f64 v[161:162], v[133:134], -v[139:140]
	v_add_f64 v[121:122], v[137:138], -v[121:122]
	v_add_f64 v[48:49], v[48:49], -v[52:53]
	v_add_f64 v[60:61], v[60:61], v[50:51]
	v_fma_f64 v[50:51], v[155:156], s[6:7], v[113:114]
	v_fma_f64 v[52:53], v[141:142], s[8:9], v[54:55]
	;; [unrolled: 1-line block ×8, first 2 shown]
	v_add_f64 v[117:118], v[133:134], -v[117:118]
	v_add_f64 v[58:59], v[139:140], -v[58:59]
	;; [unrolled: 1-line block ×3, first 2 shown]
	v_add_f64 v[121:122], v[121:122], v[48:49]
	v_fma_f64 v[48:49], v[145:146], s[14:15], v[50:51]
	v_fma_f64 v[50:51], v[60:61], s[12:13], v[52:53]
	v_add_f64 v[46:47], v[56:57], -v[46:47]
	v_fma_f64 v[52:53], v[157:158], s[12:13], v[54:55]
	v_fma_f64 v[54:55], v[169:170], s[6:7], v[62:63]
	;; [unrolled: 1-line block ×7, first 2 shown]
	v_mul_f64 v[147:148], v[147:148], s[18:19]
	v_fma_f64 v[131:132], v[161:162], s[8:9], v[131:132]
	v_fma_f64 v[74:75], v[167:168], s[6:7], v[74:75]
	v_fma_f64 v[76:77], v[151:152], s[16:17], v[76:77]
	v_fma_f64 v[78:79], v[155:156], s[8:9], v[78:79]
	v_fma_f64 v[66:67], v[66:67], s[12:13], v[125:126]
	v_add_f64 v[117:118], v[117:118], v[58:59]
	v_fma_f64 v[58:59], v[121:122], s[12:13], v[48:49]
	v_mul_f64 v[133:134], v[50:51], s[16:17]
	v_add_f64 v[129:130], v[129:130], v[46:47]
	v_mul_f64 v[135:136], v[50:51], s[12:13]
	v_fma_f64 v[54:55], v[167:168], s[14:15], v[54:55]
	v_fma_f64 v[56:57], v[151:152], s[8:9], v[56:57]
	v_fma_f64 v[62:63], v[167:168], s[8:9], v[62:63]
	v_fma_f64 v[72:73], v[151:152], s[14:15], v[72:73]
	v_fma_f64 v[113:114], v[121:122], s[12:13], v[113:114]
	v_mul_f64 v[121:122], v[60:61], s[16:17]
	v_mul_f64 v[60:61], v[60:61], s[20:21]
	v_fma_f64 v[143:144], v[143:144], s[8:9], v[147:148]
	v_fma_f64 v[131:132], v[159:160], s[12:13], v[131:132]
	;; [unrolled: 1-line block ×5, first 2 shown]
	v_mul_f64 v[123:124], v[66:67], s[14:15]
	v_mul_f64 v[66:67], v[66:67], s[22:23]
	v_add_f64 v[42:43], v[127:128], v[64:65]
	v_add_f64 v[46:47], v[127:128], -v[64:65]
	v_fma_f64 v[64:65], v[58:59], s[12:13], v[133:134]
	v_fma_f64 v[127:128], v[58:59], s[6:7], v[135:136]
	;; [unrolled: 1-line block ×8, first 2 shown]
	v_add_f64 v[50:51], v[131:132], v[143:144]
	v_add_f64 v[54:55], v[131:132], -v[143:144]
	v_fma_f64 v[121:122], v[157:158], s[12:13], v[74:75]
	v_fma_f64 v[129:130], v[159:160], s[12:13], v[76:77]
	;; [unrolled: 1-line block ×4, first 2 shown]
	v_add_f64 v[48:49], v[52:53], v[163:164]
	v_add_f64 v[56:57], v[133:134], v[64:65]
	v_add_f64 v[58:59], v[135:136], v[127:128]
	v_add_f64 v[60:61], v[133:134], -v[64:65]
	v_add_f64 v[64:65], v[117:118], v[72:73]
	v_add_f64 v[66:67], v[125:126], v[113:114]
	;; [unrolled: 1-line block ×4, first 2 shown]
	v_add_f64 v[52:53], v[52:53], -v[163:164]
	v_add_f64 v[62:63], v[135:136], -v[127:128]
	;; [unrolled: 1-line block ×6, first 2 shown]
	s_barrier
	ds_write_b128 v120, v[40:43]
	ds_write_b128 v120, v[48:51] offset:160
	ds_write_b128 v120, v[56:59] offset:320
	;; [unrolled: 1-line block ×9, first 2 shown]
	s_waitcnt lgkmcnt(0)
	s_barrier
	ds_read_b128 v[40:43], v115 offset:1600
	ds_read_b128 v[44:47], v115
	ds_read_b128 v[48:51], v115 offset:3200
	ds_read_b128 v[52:55], v115 offset:4800
	ds_read_b128 v[56:59], v115 offset:6400
	ds_read_b128 v[60:63], v115 offset:8000
	s_waitcnt lgkmcnt(5)
	v_mul_f64 v[64:65], v[86:87], v[42:43]
	v_mul_f64 v[72:73], v[86:87], v[40:41]
	s_waitcnt lgkmcnt(3)
	v_mul_f64 v[74:75], v[82:83], v[50:51]
	v_mul_f64 v[78:79], v[82:83], v[48:49]
	s_waitcnt lgkmcnt(2)
	v_mul_f64 v[113:114], v[70:71], v[52:53]
	v_fma_f64 v[76:77], v[84:85], v[40:41], v[64:65]
	ds_read_b128 v[64:67], v115 offset:9600
	v_fma_f64 v[82:83], v[84:85], v[42:43], -v[72:73]
	ds_read_b128 v[40:43], v115 offset:11200
	s_waitcnt lgkmcnt(3)
	v_mul_f64 v[72:73], v[90:91], v[58:59]
	v_fma_f64 v[74:75], v[80:81], v[48:49], v[74:75]
	s_waitcnt lgkmcnt(1)
	v_mul_f64 v[86:87], v[102:103], v[66:67]
	v_fma_f64 v[78:79], v[80:81], v[50:51], -v[78:79]
	v_mul_f64 v[80:81], v[90:91], v[56:57]
	ds_read_b128 v[48:51], v115 offset:12800
	v_mul_f64 v[84:85], v[70:71], v[54:55]
	v_mul_f64 v[90:91], v[94:95], v[62:63]
	v_fma_f64 v[56:57], v[88:89], v[56:57], v[72:73]
	ds_read_b128 v[70:73], v115 offset:14400
	v_fma_f64 v[86:87], v[100:101], v[64:65], v[86:87]
	s_waitcnt lgkmcnt(1)
	v_mul_f64 v[117:118], v[110:111], v[48:49]
	v_fma_f64 v[58:59], v[88:89], v[58:59], -v[80:81]
	v_mul_f64 v[80:81], v[110:111], v[50:51]
	v_fma_f64 v[52:53], v[68:69], v[52:53], v[84:85]
	v_fma_f64 v[54:55], v[68:69], v[54:55], -v[113:114]
	v_mul_f64 v[68:69], v[94:95], v[60:61]
	v_fma_f64 v[60:61], v[92:93], v[60:61], v[90:91]
	v_add_f64 v[84:85], v[56:57], v[86:87]
	v_fma_f64 v[50:51], v[108:109], v[50:51], -v[117:118]
	v_mul_f64 v[64:65], v[102:103], v[64:65]
	v_mul_f64 v[88:89], v[106:107], v[42:43]
	v_mul_f64 v[90:91], v[106:107], v[40:41]
	v_fma_f64 v[48:49], v[108:109], v[48:49], v[80:81]
	v_fma_f64 v[62:63], v[92:93], v[62:63], -v[68:69]
	v_add_f64 v[68:69], v[44:45], v[74:75]
	v_fma_f64 v[80:81], v[84:85], -0.5, v[44:45]
	v_add_f64 v[84:85], v[78:79], -v[50:51]
	v_fma_f64 v[64:65], v[100:101], v[66:67], -v[64:65]
	v_fma_f64 v[40:41], v[104:105], v[40:41], v[88:89]
	v_fma_f64 v[42:43], v[104:105], v[42:43], -v[90:91]
	s_waitcnt lgkmcnt(0)
	v_mul_f64 v[66:67], v[98:99], v[72:73]
	v_add_f64 v[88:89], v[74:75], v[48:49]
	v_mul_f64 v[90:91], v[98:99], v[70:71]
	v_add_f64 v[68:69], v[68:69], v[56:57]
	v_fma_f64 v[92:93], v[84:85], s[16:17], v[80:81]
	v_add_f64 v[94:95], v[58:59], -v[64:65]
	v_add_f64 v[98:99], v[74:75], -v[56:57]
	;; [unrolled: 1-line block ×3, first 2 shown]
	v_fma_f64 v[80:81], v[84:85], s[6:7], v[80:81]
	v_fma_f64 v[44:45], v[88:89], -0.5, v[44:45]
	v_fma_f64 v[66:67], v[96:97], v[70:71], v[66:67]
	v_fma_f64 v[70:71], v[96:97], v[72:73], -v[90:91]
	v_add_f64 v[72:73], v[58:59], v[64:65]
	v_add_f64 v[68:69], v[68:69], v[86:87]
	v_fma_f64 v[88:89], v[94:95], s[14:15], v[92:93]
	v_add_f64 v[90:91], v[98:99], v[100:101]
	v_fma_f64 v[80:81], v[94:95], s[8:9], v[80:81]
	v_fma_f64 v[92:93], v[94:95], s[6:7], v[44:45]
	v_add_f64 v[96:97], v[56:57], -v[74:75]
	v_add_f64 v[98:99], v[86:87], -v[48:49]
	v_add_f64 v[100:101], v[46:47], v[78:79]
	v_fma_f64 v[72:73], v[72:73], -0.5, v[46:47]
	v_add_f64 v[74:75], v[74:75], -v[48:49]
	v_add_f64 v[68:69], v[68:69], v[48:49]
	v_fma_f64 v[88:89], v[90:91], s[12:13], v[88:89]
	v_fma_f64 v[80:81], v[90:91], s[12:13], v[80:81]
	v_fma_f64 v[48:49], v[84:85], s[14:15], v[92:93]
	v_add_f64 v[90:91], v[96:97], v[98:99]
	v_fma_f64 v[44:45], v[94:95], s[16:17], v[44:45]
	v_add_f64 v[92:93], v[100:101], v[58:59]
	v_fma_f64 v[94:95], v[74:75], s[6:7], v[72:73]
	v_add_f64 v[56:57], v[56:57], -v[86:87]
	v_add_f64 v[86:87], v[78:79], -v[58:59]
	;; [unrolled: 1-line block ×3, first 2 shown]
	v_fma_f64 v[72:73], v[74:75], s[16:17], v[72:73]
	v_add_f64 v[98:99], v[78:79], v[50:51]
	v_fma_f64 v[44:45], v[84:85], s[8:9], v[44:45]
	v_add_f64 v[84:85], v[92:93], v[64:65]
	;; [unrolled: 2-line block ×4, first 2 shown]
	v_fma_f64 v[72:73], v[56:57], s[14:15], v[72:73]
	v_fma_f64 v[46:47], v[98:99], -0.5, v[46:47]
	v_fma_f64 v[90:91], v[90:91], s[12:13], v[44:45]
	v_add_f64 v[84:85], v[84:85], v[50:51]
	v_add_f64 v[44:45], v[76:77], v[52:53]
	v_fma_f64 v[48:49], v[48:49], -0.5, v[76:77]
	v_add_f64 v[96:97], v[54:55], -v[70:71]
	v_fma_f64 v[94:95], v[86:87], s[12:13], v[94:95]
	v_fma_f64 v[86:87], v[86:87], s[12:13], v[72:73]
	v_fma_f64 v[72:73], v[56:57], s[16:17], v[46:47]
	v_add_f64 v[58:59], v[58:59], -v[78:79]
	v_add_f64 v[50:51], v[64:65], -v[50:51]
	v_add_f64 v[78:79], v[52:53], v[66:67]
	v_fma_f64 v[46:47], v[56:57], s[6:7], v[46:47]
	v_add_f64 v[44:45], v[44:45], v[60:61]
	v_fma_f64 v[56:57], v[96:97], s[16:17], v[48:49]
	v_add_f64 v[64:65], v[62:63], -v[42:43]
	v_add_f64 v[98:99], v[52:53], -v[60:61]
	;; [unrolled: 1-line block ×3, first 2 shown]
	v_add_f64 v[102:103], v[62:63], v[42:43]
	v_fma_f64 v[72:73], v[74:75], s[8:9], v[72:73]
	v_add_f64 v[50:51], v[58:59], v[50:51]
	v_fma_f64 v[58:59], v[78:79], -0.5, v[76:77]
	v_fma_f64 v[46:47], v[74:75], s[14:15], v[46:47]
	v_add_f64 v[44:45], v[44:45], v[40:41]
	v_fma_f64 v[56:57], v[64:65], s[14:15], v[56:57]
	v_add_f64 v[74:75], v[98:99], v[100:101]
	v_fma_f64 v[76:77], v[102:103], -0.5, v[82:83]
	v_add_f64 v[78:79], v[52:53], -v[66:67]
	v_fma_f64 v[98:99], v[50:51], s[12:13], v[72:73]
	v_add_f64 v[72:73], v[54:55], v[70:71]
	v_fma_f64 v[100:101], v[64:65], s[6:7], v[58:59]
	v_fma_f64 v[102:103], v[50:51], s[12:13], v[46:47]
	v_add_f64 v[104:105], v[44:45], v[66:67]
	v_fma_f64 v[46:47], v[74:75], s[12:13], v[56:57]
	v_add_f64 v[50:51], v[60:61], -v[40:41]
	v_fma_f64 v[44:45], v[78:79], s[6:7], v[76:77]
	v_add_f64 v[52:53], v[60:61], -v[52:53]
	v_fma_f64 v[56:57], v[72:73], -0.5, v[82:83]
	v_fma_f64 v[72:73], v[96:97], s[14:15], v[100:101]
	v_add_f64 v[60:61], v[54:55], -v[62:63]
	v_add_f64 v[100:101], v[70:71], -v[42:43]
	v_fma_f64 v[48:49], v[96:97], s[6:7], v[48:49]
	v_add_f64 v[82:83], v[82:83], v[54:55]
	v_fma_f64 v[44:45], v[50:51], s[8:9], v[44:45]
	v_add_f64 v[54:55], v[62:63], -v[54:55]
	v_fma_f64 v[106:107], v[50:51], s[16:17], v[56:57]
	v_add_f64 v[108:109], v[42:43], -v[70:71]
	v_fma_f64 v[56:57], v[50:51], s[6:7], v[56:57]
	v_add_f64 v[60:61], v[60:61], v[100:101]
	v_fma_f64 v[76:77], v[78:79], s[16:17], v[76:77]
	v_fma_f64 v[48:49], v[64:65], s[8:9], v[48:49]
	v_add_f64 v[40:41], v[40:41], -v[66:67]
	v_fma_f64 v[58:59], v[64:65], s[16:17], v[58:59]
	v_add_f64 v[62:63], v[82:83], v[62:63]
	v_fma_f64 v[64:65], v[78:79], s[8:9], v[106:107]
	v_add_f64 v[54:55], v[54:55], v[108:109]
	v_fma_f64 v[56:57], v[78:79], s[14:15], v[56:57]
	v_fma_f64 v[44:45], v[60:61], s[12:13], v[44:45]
	;; [unrolled: 1-line block ×3, first 2 shown]
	v_add_f64 v[40:41], v[52:53], v[40:41]
	v_fma_f64 v[52:53], v[96:97], s[8:9], v[58:59]
	v_add_f64 v[42:43], v[62:63], v[42:43]
	v_fma_f64 v[48:49], v[74:75], s[12:13], v[48:49]
	v_fma_f64 v[58:59], v[54:55], s[12:13], v[64:65]
	v_fma_f64 v[54:55], v[54:55], s[12:13], v[56:57]
	v_mul_f64 v[56:57], v[44:45], s[14:15]
	v_fma_f64 v[50:51], v[60:61], s[12:13], v[50:51]
	v_fma_f64 v[60:61], v[40:41], s[12:13], v[72:73]
	;; [unrolled: 1-line block ×3, first 2 shown]
	v_add_f64 v[62:63], v[42:43], v[70:71]
	v_add_f64 v[40:41], v[68:69], v[104:105]
	v_mul_f64 v[42:43], v[58:59], s[16:17]
	v_mul_f64 v[58:59], v[58:59], s[12:13]
	v_fma_f64 v[70:71], v[46:47], s[18:19], v[56:57]
	v_mul_f64 v[56:57], v[44:45], s[18:19]
	v_mul_f64 v[64:65], v[54:55], s[16:17]
	;; [unrolled: 1-line block ×5, first 2 shown]
	v_fma_f64 v[72:73], v[60:61], s[12:13], v[42:43]
	v_fma_f64 v[82:83], v[60:61], s[6:7], v[58:59]
	v_add_f64 v[42:43], v[84:85], v[62:63]
	v_fma_f64 v[78:79], v[46:47], s[8:9], v[56:57]
	v_fma_f64 v[74:75], v[52:53], s[20:21], v[64:65]
	;; [unrolled: 1-line block ×5, first 2 shown]
	v_add_f64 v[44:45], v[88:89], v[70:71]
	v_add_f64 v[48:49], v[92:93], v[72:73]
	;; [unrolled: 1-line block ×8, first 2 shown]
	v_add_f64 v[60:61], v[68:69], -v[104:105]
	v_add_f64 v[62:63], v[84:85], -v[62:63]
	;; [unrolled: 1-line block ×10, first 2 shown]
	ds_write_b128 v115, v[40:43]
	ds_write_b128 v115, v[44:47] offset:1600
	ds_write_b128 v115, v[48:51] offset:3200
	;; [unrolled: 1-line block ×9, first 2 shown]
	s_waitcnt lgkmcnt(0)
	s_barrier
	ds_read_b128 v[40:43], v115
	ds_read_b128 v[44:47], v115 offset:1600
	v_mad_u64_u32 v[48:49], s[6:7], s2, v112, 0
	s_waitcnt lgkmcnt(1)
	v_mul_f64 v[50:51], v[38:39], v[42:43]
	v_mul_f64 v[38:39], v[38:39], v[40:41]
	v_mad_u64_u32 v[52:53], s[2:3], s3, v112, v[49:50]
	v_mad_u64_u32 v[53:54], s[2:3], s0, v116, 0
	v_fma_f64 v[40:41], v[36:37], v[40:41], v[50:51]
	v_fma_f64 v[38:39], v[36:37], v[42:43], -v[38:39]
	v_mov_b32_e32 v36, v54
	v_mad_u64_u32 v[42:43], s[2:3], s1, v116, v[36:37]
	s_mov_b32 s2, 0xd2f1a9fc
	s_mov_b32 s3, 0x3f50624d
	v_mov_b32_e32 v54, v42
	s_waitcnt lgkmcnt(0)
	v_mul_f64 v[42:43], v[26:27], v[46:47]
	v_mul_f64 v[26:27], v[26:27], v[44:45]
	v_mov_b32_e32 v49, v52
	v_mul_f64 v[36:37], v[40:41], s[2:3]
	v_mul_f64 v[38:39], v[38:39], s[2:3]
	v_lshlrev_b64 v[40:41], 4, v[48:49]
	v_mov_b32_e32 v48, s5
	v_add_co_u32_e32 v49, vcc, s4, v40
	v_fma_f64 v[42:43], v[24:25], v[44:45], v[42:43]
	v_fma_f64 v[44:45], v[24:25], v[46:47], -v[26:27]
	ds_read_b128 v[24:27], v115 offset:3200
	v_addc_co_u32_e32 v48, vcc, v48, v41, vcc
	v_lshlrev_b64 v[40:41], 4, v[53:54]
	s_mulk_i32 s1, 0x640
	v_add_co_u32_e32 v46, vcc, v49, v40
	v_addc_co_u32_e32 v47, vcc, v48, v41, vcc
	global_store_dwordx4 v[46:47], v[36:39], off
	s_mul_hi_u32 s4, s0, 0x640
	v_mul_f64 v[36:37], v[42:43], s[2:3]
	ds_read_b128 v[40:43], v115 offset:4800
	s_waitcnt lgkmcnt(1)
	v_mul_f64 v[48:49], v[2:3], v[26:27]
	v_mul_f64 v[2:3], v[2:3], v[24:25]
	v_mul_f64 v[38:39], v[44:45], s[2:3]
	s_add_i32 s1, s4, s1
	s_waitcnt lgkmcnt(0)
	v_mul_f64 v[44:45], v[34:35], v[42:43]
	v_mul_f64 v[34:35], v[34:35], v[40:41]
	s_mulk_i32 s0, 0x640
	v_mov_b32_e32 v50, s1
	v_fma_f64 v[24:25], v[0:1], v[24:25], v[48:49]
	v_fma_f64 v[2:3], v[0:1], v[26:27], -v[2:3]
	v_add_co_u32_e32 v46, vcc, s0, v46
	v_addc_co_u32_e32 v47, vcc, v47, v50, vcc
	global_store_dwordx4 v[46:47], v[36:39], off
	v_mov_b32_e32 v48, s1
	v_mul_f64 v[0:1], v[24:25], s[2:3]
	ds_read_b128 v[24:27], v115 offset:6400
	v_mul_f64 v[2:3], v[2:3], s[2:3]
	v_fma_f64 v[36:37], v[32:33], v[40:41], v[44:45]
	v_fma_f64 v[38:39], v[32:33], v[42:43], -v[34:35]
	ds_read_b128 v[32:35], v115 offset:8000
	s_waitcnt lgkmcnt(1)
	v_mul_f64 v[40:41], v[10:11], v[26:27]
	v_mul_f64 v[10:11], v[10:11], v[24:25]
	v_add_co_u32_e32 v42, vcc, s0, v46
	v_addc_co_u32_e32 v43, vcc, v47, v48, vcc
	global_store_dwordx4 v[42:43], v[0:3], off
	v_fma_f64 v[24:25], v[8:9], v[24:25], v[40:41]
	v_mul_f64 v[0:1], v[36:37], s[2:3]
	v_mul_f64 v[2:3], v[38:39], s[2:3]
	v_fma_f64 v[8:9], v[8:9], v[26:27], -v[10:11]
	s_waitcnt lgkmcnt(0)
	v_mul_f64 v[10:11], v[6:7], v[34:35]
	v_mul_f64 v[26:27], v[6:7], v[32:33]
	v_mov_b32_e32 v37, s1
	v_add_co_u32_e32 v36, vcc, s0, v42
	v_addc_co_u32_e32 v37, vcc, v43, v37, vcc
	global_store_dwordx4 v[36:37], v[0:3], off
	v_fma_f64 v[10:11], v[4:5], v[32:33], v[10:11]
	v_mul_f64 v[2:3], v[8:9], s[2:3]
	ds_read_b128 v[6:9], v115 offset:9600
	v_mul_f64 v[0:1], v[24:25], s[2:3]
	v_fma_f64 v[4:5], v[4:5], v[34:35], -v[26:27]
	ds_read_b128 v[24:27], v115 offset:11200
	v_mov_b32_e32 v38, s1
	s_waitcnt lgkmcnt(1)
	v_mul_f64 v[32:33], v[30:31], v[8:9]
	v_mul_f64 v[30:31], v[30:31], v[6:7]
	v_add_co_u32_e32 v34, vcc, s0, v36
	v_addc_co_u32_e32 v35, vcc, v37, v38, vcc
	global_store_dwordx4 v[34:35], v[0:3], off
	v_mov_b32_e32 v36, s1
	v_mul_f64 v[0:1], v[10:11], s[2:3]
	v_mul_f64 v[2:3], v[4:5], s[2:3]
	v_fma_f64 v[4:5], v[28:29], v[6:7], v[32:33]
	v_fma_f64 v[6:7], v[28:29], v[8:9], -v[30:31]
	s_waitcnt lgkmcnt(0)
	v_mul_f64 v[8:9], v[14:15], v[26:27]
	v_mul_f64 v[10:11], v[14:15], v[24:25]
	v_add_co_u32_e32 v14, vcc, s0, v34
	v_addc_co_u32_e32 v15, vcc, v35, v36, vcc
	global_store_dwordx4 v[14:15], v[0:3], off
	v_mov_b32_e32 v28, s1
	v_mul_f64 v[0:1], v[4:5], s[2:3]
	v_mul_f64 v[2:3], v[6:7], s[2:3]
	v_fma_f64 v[24:25], v[12:13], v[24:25], v[8:9]
	v_fma_f64 v[12:13], v[12:13], v[26:27], -v[10:11]
	ds_read_b128 v[4:7], v115 offset:12800
	ds_read_b128 v[8:11], v115 offset:14400
	v_add_co_u32_e32 v14, vcc, s0, v14
	v_addc_co_u32_e32 v15, vcc, v15, v28, vcc
	s_waitcnt lgkmcnt(1)
	v_mul_f64 v[26:27], v[18:19], v[6:7]
	v_mul_f64 v[18:19], v[18:19], v[4:5]
	s_waitcnt lgkmcnt(0)
	v_mul_f64 v[28:29], v[22:23], v[10:11]
	v_mul_f64 v[22:23], v[22:23], v[8:9]
	global_store_dwordx4 v[14:15], v[0:3], off
	v_fma_f64 v[4:5], v[16:17], v[4:5], v[26:27]
	v_mul_f64 v[0:1], v[24:25], s[2:3]
	v_mul_f64 v[2:3], v[12:13], s[2:3]
	v_fma_f64 v[6:7], v[16:17], v[6:7], -v[18:19]
	v_fma_f64 v[8:9], v[20:21], v[8:9], v[28:29]
	v_fma_f64 v[10:11], v[20:21], v[10:11], -v[22:23]
	v_mov_b32_e32 v13, s1
	v_add_co_u32_e32 v12, vcc, s0, v14
	v_addc_co_u32_e32 v13, vcc, v15, v13, vcc
	global_store_dwordx4 v[12:13], v[0:3], off
	v_mov_b32_e32 v14, s1
	v_mul_f64 v[0:1], v[4:5], s[2:3]
	v_mul_f64 v[2:3], v[6:7], s[2:3]
	;; [unrolled: 1-line block ×4, first 2 shown]
	v_add_co_u32_e32 v8, vcc, s0, v12
	v_addc_co_u32_e32 v9, vcc, v13, v14, vcc
	global_store_dwordx4 v[8:9], v[0:3], off
	s_nop 0
	v_mov_b32_e32 v1, s1
	v_add_co_u32_e32 v0, vcc, s0, v8
	v_addc_co_u32_e32 v1, vcc, v9, v1, vcc
	global_store_dwordx4 v[0:1], v[4:7], off
.LBB0_2:
	s_endpgm
	.section	.rodata,"a",@progbits
	.p2align	6, 0x0
	.amdhsa_kernel bluestein_single_back_len1000_dim1_dp_op_CI_CI
		.amdhsa_group_segment_fixed_size 16000
		.amdhsa_private_segment_fixed_size 0
		.amdhsa_kernarg_size 104
		.amdhsa_user_sgpr_count 6
		.amdhsa_user_sgpr_private_segment_buffer 1
		.amdhsa_user_sgpr_dispatch_ptr 0
		.amdhsa_user_sgpr_queue_ptr 0
		.amdhsa_user_sgpr_kernarg_segment_ptr 1
		.amdhsa_user_sgpr_dispatch_id 0
		.amdhsa_user_sgpr_flat_scratch_init 0
		.amdhsa_user_sgpr_private_segment_size 0
		.amdhsa_uses_dynamic_stack 0
		.amdhsa_system_sgpr_private_segment_wavefront_offset 0
		.amdhsa_system_sgpr_workgroup_id_x 1
		.amdhsa_system_sgpr_workgroup_id_y 0
		.amdhsa_system_sgpr_workgroup_id_z 0
		.amdhsa_system_sgpr_workgroup_info 0
		.amdhsa_system_vgpr_workitem_id 0
		.amdhsa_next_free_vgpr 213
		.amdhsa_next_free_sgpr 25
		.amdhsa_reserve_vcc 1
		.amdhsa_reserve_flat_scratch 0
		.amdhsa_float_round_mode_32 0
		.amdhsa_float_round_mode_16_64 0
		.amdhsa_float_denorm_mode_32 3
		.amdhsa_float_denorm_mode_16_64 3
		.amdhsa_dx10_clamp 1
		.amdhsa_ieee_mode 1
		.amdhsa_fp16_overflow 0
		.amdhsa_exception_fp_ieee_invalid_op 0
		.amdhsa_exception_fp_denorm_src 0
		.amdhsa_exception_fp_ieee_div_zero 0
		.amdhsa_exception_fp_ieee_overflow 0
		.amdhsa_exception_fp_ieee_underflow 0
		.amdhsa_exception_fp_ieee_inexact 0
		.amdhsa_exception_int_div_zero 0
	.end_amdhsa_kernel
	.text
.Lfunc_end0:
	.size	bluestein_single_back_len1000_dim1_dp_op_CI_CI, .Lfunc_end0-bluestein_single_back_len1000_dim1_dp_op_CI_CI
                                        ; -- End function
	.section	.AMDGPU.csdata,"",@progbits
; Kernel info:
; codeLenInByte = 12324
; NumSgprs: 29
; NumVgprs: 213
; ScratchSize: 0
; MemoryBound: 0
; FloatMode: 240
; IeeeMode: 1
; LDSByteSize: 16000 bytes/workgroup (compile time only)
; SGPRBlocks: 3
; VGPRBlocks: 53
; NumSGPRsForWavesPerEU: 29
; NumVGPRsForWavesPerEU: 213
; Occupancy: 1
; WaveLimiterHint : 1
; COMPUTE_PGM_RSRC2:SCRATCH_EN: 0
; COMPUTE_PGM_RSRC2:USER_SGPR: 6
; COMPUTE_PGM_RSRC2:TRAP_HANDLER: 0
; COMPUTE_PGM_RSRC2:TGID_X_EN: 1
; COMPUTE_PGM_RSRC2:TGID_Y_EN: 0
; COMPUTE_PGM_RSRC2:TGID_Z_EN: 0
; COMPUTE_PGM_RSRC2:TIDIG_COMP_CNT: 0
	.type	__hip_cuid_837863f11a781bba,@object ; @__hip_cuid_837863f11a781bba
	.section	.bss,"aw",@nobits
	.globl	__hip_cuid_837863f11a781bba
__hip_cuid_837863f11a781bba:
	.byte	0                               ; 0x0
	.size	__hip_cuid_837863f11a781bba, 1

	.ident	"AMD clang version 19.0.0git (https://github.com/RadeonOpenCompute/llvm-project roc-6.4.0 25133 c7fe45cf4b819c5991fe208aaa96edf142730f1d)"
	.section	".note.GNU-stack","",@progbits
	.addrsig
	.addrsig_sym __hip_cuid_837863f11a781bba
	.amdgpu_metadata
---
amdhsa.kernels:
  - .args:
      - .actual_access:  read_only
        .address_space:  global
        .offset:         0
        .size:           8
        .value_kind:     global_buffer
      - .actual_access:  read_only
        .address_space:  global
        .offset:         8
        .size:           8
        .value_kind:     global_buffer
      - .actual_access:  read_only
        .address_space:  global
        .offset:         16
        .size:           8
        .value_kind:     global_buffer
      - .actual_access:  read_only
        .address_space:  global
        .offset:         24
        .size:           8
        .value_kind:     global_buffer
      - .actual_access:  read_only
        .address_space:  global
        .offset:         32
        .size:           8
        .value_kind:     global_buffer
      - .offset:         40
        .size:           8
        .value_kind:     by_value
      - .address_space:  global
        .offset:         48
        .size:           8
        .value_kind:     global_buffer
      - .address_space:  global
        .offset:         56
        .size:           8
        .value_kind:     global_buffer
      - .address_space:  global
        .offset:         64
        .size:           8
        .value_kind:     global_buffer
      - .address_space:  global
        .offset:         72
        .size:           8
        .value_kind:     global_buffer
      - .offset:         80
        .size:           4
        .value_kind:     by_value
      - .address_space:  global
        .offset:         88
        .size:           8
        .value_kind:     global_buffer
      - .address_space:  global
        .offset:         96
        .size:           8
        .value_kind:     global_buffer
    .group_segment_fixed_size: 16000
    .kernarg_segment_align: 8
    .kernarg_segment_size: 104
    .language:       OpenCL C
    .language_version:
      - 2
      - 0
    .max_flat_workgroup_size: 100
    .name:           bluestein_single_back_len1000_dim1_dp_op_CI_CI
    .private_segment_fixed_size: 0
    .sgpr_count:     29
    .sgpr_spill_count: 0
    .symbol:         bluestein_single_back_len1000_dim1_dp_op_CI_CI.kd
    .uniform_work_group_size: 1
    .uses_dynamic_stack: false
    .vgpr_count:     213
    .vgpr_spill_count: 0
    .wavefront_size: 64
amdhsa.target:   amdgcn-amd-amdhsa--gfx906
amdhsa.version:
  - 1
  - 2
...

	.end_amdgpu_metadata
